;; amdgpu-corpus repo=ROCm/composable_kernel kind=compiled arch=gfx90a opt=O3
	.text
	.amdgcn_target "amdgcn-amd-amdhsa--gfx90a"
	.amdhsa_code_object_version 6
	.section	.text._ZN2ckL12flush_icacheEv,"axG",@progbits,_ZN2ckL12flush_icacheEv,comdat
	.globl	_ZN2ckL12flush_icacheEv         ; -- Begin function _ZN2ckL12flush_icacheEv
	.p2align	8
	.type	_ZN2ckL12flush_icacheEv,@function
_ZN2ckL12flush_icacheEv:                ; @_ZN2ckL12flush_icacheEv
; %bb.0:
	;;#ASMSTART
	s_icache_inv 
	s_nop 0 
	s_nop 0 
	;; [unrolled: 1-line block ×16, first 2 shown]
	
	;;#ASMEND
	s_endpgm
	.section	.rodata,"a",@progbits
	.p2align	6, 0x0
	.amdhsa_kernel _ZN2ckL12flush_icacheEv
		.amdhsa_group_segment_fixed_size 0
		.amdhsa_private_segment_fixed_size 0
		.amdhsa_kernarg_size 0
		.amdhsa_user_sgpr_count 4
		.amdhsa_user_sgpr_private_segment_buffer 1
		.amdhsa_user_sgpr_dispatch_ptr 0
		.amdhsa_user_sgpr_queue_ptr 0
		.amdhsa_user_sgpr_kernarg_segment_ptr 0
		.amdhsa_user_sgpr_dispatch_id 0
		.amdhsa_user_sgpr_flat_scratch_init 0
		.amdhsa_user_sgpr_kernarg_preload_length 0
		.amdhsa_user_sgpr_kernarg_preload_offset 0
		.amdhsa_user_sgpr_private_segment_size 0
		.amdhsa_uses_dynamic_stack 0
		.amdhsa_system_sgpr_private_segment_wavefront_offset 0
		.amdhsa_system_sgpr_workgroup_id_x 1
		.amdhsa_system_sgpr_workgroup_id_y 0
		.amdhsa_system_sgpr_workgroup_id_z 0
		.amdhsa_system_sgpr_workgroup_info 0
		.amdhsa_system_vgpr_workitem_id 0
		.amdhsa_next_free_vgpr 1
		.amdhsa_next_free_sgpr 0
		.amdhsa_accum_offset 4
		.amdhsa_reserve_vcc 0
		.amdhsa_reserve_flat_scratch 0
		.amdhsa_float_round_mode_32 0
		.amdhsa_float_round_mode_16_64 0
		.amdhsa_float_denorm_mode_32 3
		.amdhsa_float_denorm_mode_16_64 3
		.amdhsa_dx10_clamp 1
		.amdhsa_ieee_mode 1
		.amdhsa_fp16_overflow 0
		.amdhsa_tg_split 0
		.amdhsa_exception_fp_ieee_invalid_op 0
		.amdhsa_exception_fp_denorm_src 0
		.amdhsa_exception_fp_ieee_div_zero 0
		.amdhsa_exception_fp_ieee_overflow 0
		.amdhsa_exception_fp_ieee_underflow 0
		.amdhsa_exception_fp_ieee_inexact 0
		.amdhsa_exception_int_div_zero 0
	.end_amdhsa_kernel
	.section	.text._ZN2ckL12flush_icacheEv,"axG",@progbits,_ZN2ckL12flush_icacheEv,comdat
.Lfunc_end0:
	.size	_ZN2ckL12flush_icacheEv, .Lfunc_end0-_ZN2ckL12flush_icacheEv
                                        ; -- End function
	.section	.AMDGPU.csdata,"",@progbits
; Kernel info:
; codeLenInByte = 140
; NumSgprs: 4
; NumVgprs: 0
; NumAgprs: 0
; TotalNumVgprs: 0
; ScratchSize: 0
; MemoryBound: 0
; FloatMode: 240
; IeeeMode: 1
; LDSByteSize: 0 bytes/workgroup (compile time only)
; SGPRBlocks: 0
; VGPRBlocks: 0
; NumSGPRsForWavesPerEU: 4
; NumVGPRsForWavesPerEU: 1
; AccumOffset: 4
; Occupancy: 8
; WaveLimiterHint : 0
; COMPUTE_PGM_RSRC2:SCRATCH_EN: 0
; COMPUTE_PGM_RSRC2:USER_SGPR: 4
; COMPUTE_PGM_RSRC2:TRAP_HANDLER: 0
; COMPUTE_PGM_RSRC2:TGID_X_EN: 1
; COMPUTE_PGM_RSRC2:TGID_Y_EN: 0
; COMPUTE_PGM_RSRC2:TGID_Z_EN: 0
; COMPUTE_PGM_RSRC2:TIDIG_COMP_CNT: 0
; COMPUTE_PGM_RSRC3_GFX90A:ACCUM_OFFSET: 0
; COMPUTE_PGM_RSRC3_GFX90A:TG_SPLIT: 0
	.text
	.p2align	2                               ; -- Begin function _ZNK2ck6detail15static_for_implINS_8SequenceIJLi1ELi2ELi3ELi4ELi5ELi6ELi7ELi8ELi9ELi10ELi11ELi12ELi13ELi14ELi15EEEEEclIZNKS_80BlockwiseGemmDl_A_BK0_BM_BK1_B_BK0_BN_BK1_C_BM0_BM1_BN0_BN1_pipeline_BM0_2_BN0_2ILi256EaaiKNS_16TensorDescriptorINS_5TupleIJNS_5EmbedINS8_IJNS_17integral_constantIiLi16EEENSA_IiLi128EEENSA_IiLi4EEEEEENS8_IJNSA_IiLi512EEESD_NSA_IiLi1EEEEEELb0EEEEEENS8_IJNS2_IJLi0EEEEEEENS8_IJNS2_IJLi1ELi2ELi3EEEEEEESM_NSA_IlLl8192EEEEESQ_Li4ELi4ELi1ENS2_IJLi8ELi2EEEESR_Li4ELi4ELb0EE3RunINS7_INS8_IJNS_7UnMergeINS8_IJNSA_IiLi2EEESD_SV_SD_EEELb0EEEEEESL_NS8_IJNS2_IJLi1ELi2ELi3ELi4EEEEEEESZ_NSA_IlLl64EEEEENS_13DynamicBufferILNS_16AddressSpaceEnumE2EaSO_Lb1ELNS_22AmdBufferCoherenceEnumE0EiEES16_NS_12StaticBufferILS14_4EiLi64ELb1EEEEEvRKT_RKT0_RKT1_RT2_EUlS19_E_EEvS19_
	.type	_ZNK2ck6detail15static_for_implINS_8SequenceIJLi1ELi2ELi3ELi4ELi5ELi6ELi7ELi8ELi9ELi10ELi11ELi12ELi13ELi14ELi15EEEEEclIZNKS_80BlockwiseGemmDl_A_BK0_BM_BK1_B_BK0_BN_BK1_C_BM0_BM1_BN0_BN1_pipeline_BM0_2_BN0_2ILi256EaaiKNS_16TensorDescriptorINS_5TupleIJNS_5EmbedINS8_IJNS_17integral_constantIiLi16EEENSA_IiLi128EEENSA_IiLi4EEEEEENS8_IJNSA_IiLi512EEESD_NSA_IiLi1EEEEEELb0EEEEEENS8_IJNS2_IJLi0EEEEEEENS8_IJNS2_IJLi1ELi2ELi3EEEEEEESM_NSA_IlLl8192EEEEESQ_Li4ELi4ELi1ENS2_IJLi8ELi2EEEESR_Li4ELi4ELb0EE3RunINS7_INS8_IJNS_7UnMergeINS8_IJNSA_IiLi2EEESD_SV_SD_EEELb0EEEEEESL_NS8_IJNS2_IJLi1ELi2ELi3ELi4EEEEEEESZ_NSA_IlLl64EEEEENS_13DynamicBufferILNS_16AddressSpaceEnumE2EaSO_Lb1ELNS_22AmdBufferCoherenceEnumE0EiEES16_NS_12StaticBufferILS14_4EiLi64ELb1EEEEEvRKT_RKT0_RKT1_RT2_EUlS19_E_EEvS19_,@function
_ZNK2ck6detail15static_for_implINS_8SequenceIJLi1ELi2ELi3ELi4ELi5ELi6ELi7ELi8ELi9ELi10ELi11ELi12ELi13ELi14ELi15EEEEEclIZNKS_80BlockwiseGemmDl_A_BK0_BM_BK1_B_BK0_BN_BK1_C_BM0_BM1_BN0_BN1_pipeline_BM0_2_BN0_2ILi256EaaiKNS_16TensorDescriptorINS_5TupleIJNS_5EmbedINS8_IJNS_17integral_constantIiLi16EEENSA_IiLi128EEENSA_IiLi4EEEEEENS8_IJNSA_IiLi512EEESD_NSA_IiLi1EEEEEELb0EEEEEENS8_IJNS2_IJLi0EEEEEEENS8_IJNS2_IJLi1ELi2ELi3EEEEEEESM_NSA_IlLl8192EEEEESQ_Li4ELi4ELi1ENS2_IJLi8ELi2EEEESR_Li4ELi4ELb0EE3RunINS7_INS8_IJNS_7UnMergeINS8_IJNSA_IiLi2EEESD_SV_SD_EEELb0EEEEEESL_NS8_IJNS2_IJLi1ELi2ELi3ELi4EEEEEEESZ_NSA_IlLl64EEEEENS_13DynamicBufferILNS_16AddressSpaceEnumE2EaSO_Lb1ELNS_22AmdBufferCoherenceEnumE0EiEES16_NS_12StaticBufferILS14_4EiLi64ELb1EEEEEvRKT_RKT0_RKT1_RT2_EUlS19_E_EEvS19_: ; @_ZNK2ck6detail15static_for_implINS_8SequenceIJLi1ELi2ELi3ELi4ELi5ELi6ELi7ELi8ELi9ELi10ELi11ELi12ELi13ELi14ELi15EEEEEclIZNKS_80BlockwiseGemmDl_A_BK0_BM_BK1_B_BK0_BN_BK1_C_BM0_BM1_BN0_BN1_pipeline_BM0_2_BN0_2ILi256EaaiKNS_16TensorDescriptorINS_5TupleIJNS_5EmbedINS8_IJNS_17integral_constantIiLi16EEENSA_IiLi128EEENSA_IiLi4EEEEEENS8_IJNSA_IiLi512EEESD_NSA_IiLi1EEEEEELb0EEEEEENS8_IJNS2_IJLi0EEEEEEENS8_IJNS2_IJLi1ELi2ELi3EEEEEEESM_NSA_IlLl8192EEEEESQ_Li4ELi4ELi1ENS2_IJLi8ELi2EEEESR_Li4ELi4ELb0EE3RunINS7_INS8_IJNS_7UnMergeINS8_IJNSA_IiLi2EEESD_SV_SD_EEELb0EEEEEESL_NS8_IJNS2_IJLi1ELi2ELi3ELi4EEEEEEESZ_NSA_IlLl64EEEEENS_13DynamicBufferILNS_16AddressSpaceEnumE2EaSO_Lb1ELNS_22AmdBufferCoherenceEnumE0EiEES16_NS_12StaticBufferILS14_4EiLi64ELb1EEEEEvRKT_RKT0_RKT1_RT2_EUlS19_E_EEvS19_
; %bb.0:
	s_waitcnt vmcnt(0) expcnt(0) lgkmcnt(0)
	flat_load_dword v14, v[0:1] offset:16
	flat_load_dwordx2 v[12:13], v[2:3]
	s_movk_i32 s4, 0x1000
	s_waitcnt vmcnt(0) lgkmcnt(0)
	v_ashrrev_i32_e32 v15, 31, v14
	v_add_co_u32_e32 v16, vcc, v12, v14
	v_addc_co_u32_e32 v17, vcc, v13, v15, vcc
	flat_load_dwordx4 v[12:15], v[16:17] offset:512
	flat_load_dword v20, v[4:5] offset:16
	s_waitcnt vmcnt(0) lgkmcnt(0)
	flat_store_dwordx4 v[4:5], v[12:15]
	flat_load_dword v21, v[6:7]
	s_nop 0
	flat_load_dwordx4 v[12:15], v[8:9] offset:128
	flat_load_dwordx4 v[16:19], v[8:9] offset:160
	s_waitcnt vmcnt(0) lgkmcnt(0)
	v_dot4c_i32_i8_e32 v12, v20, v21
	s_nop 2
	flat_store_dword v[8:9], v12 offset:128
	flat_load_dword v12, v[4:5] offset:16
	s_nop 0
	flat_load_dword v20, v[6:7] offset:4
	s_waitcnt vmcnt(0) lgkmcnt(0)
	v_dot4c_i32_i8_e32 v13, v12, v20
	s_nop 2
	flat_store_dword v[8:9], v13 offset:132
	flat_load_dword v12, v[4:5] offset:16
	s_nop 0
	flat_load_dword v13, v[6:7] offset:8
	s_waitcnt vmcnt(0) lgkmcnt(0)
	v_dot4c_i32_i8_e32 v14, v12, v13
	s_nop 2
	flat_store_dword v[8:9], v14 offset:136
	flat_load_dword v12, v[4:5] offset:16
	flat_load_dword v13, v[6:7] offset:12
	s_waitcnt vmcnt(0) lgkmcnt(0)
	v_dot4c_i32_i8_e32 v15, v12, v13
	s_nop 2
	flat_store_dword v[8:9], v15 offset:140
	flat_load_dword v12, v[4:5] offset:20
	flat_load_dword v13, v[6:7]
	s_waitcnt vmcnt(0) lgkmcnt(0)
	v_dot4c_i32_i8_e32 v16, v12, v13
	s_nop 2
	flat_store_dword v[8:9], v16 offset:160
	flat_load_dword v12, v[4:5] offset:20
	flat_load_dword v13, v[6:7] offset:4
	s_waitcnt vmcnt(0) lgkmcnt(0)
	v_dot4c_i32_i8_e32 v17, v12, v13
	s_nop 2
	flat_store_dword v[8:9], v17 offset:164
	flat_load_dword v12, v[4:5] offset:20
	flat_load_dword v13, v[6:7] offset:8
	;; [unrolled: 6-line block ×3, first 2 shown]
	s_waitcnt vmcnt(0) lgkmcnt(0)
	v_dot4c_i32_i8_e32 v19, v12, v13
	s_nop 2
	flat_store_dword v[8:9], v19 offset:172
	flat_load_dword v20, v[4:5] offset:24
	flat_load_dword v21, v[6:7]
	flat_load_dwordx4 v[12:15], v[8:9] offset:192
	s_nop 0
	flat_load_dwordx4 v[16:19], v[8:9] offset:224
	s_waitcnt vmcnt(0) lgkmcnt(0)
	v_dot4c_i32_i8_e32 v12, v20, v21
	s_nop 2
	flat_store_dword v[8:9], v12 offset:192
	flat_load_dword v12, v[4:5] offset:24
	s_nop 0
	flat_load_dword v20, v[6:7] offset:4
	s_waitcnt vmcnt(0) lgkmcnt(0)
	v_dot4c_i32_i8_e32 v13, v12, v20
	s_nop 2
	flat_store_dword v[8:9], v13 offset:196
	flat_load_dword v12, v[4:5] offset:24
	s_nop 0
	flat_load_dword v13, v[6:7] offset:8
	s_waitcnt vmcnt(0) lgkmcnt(0)
	v_dot4c_i32_i8_e32 v14, v12, v13
	s_nop 2
	flat_store_dword v[8:9], v14 offset:200
	flat_load_dword v12, v[4:5] offset:24
	flat_load_dword v13, v[6:7] offset:12
	s_waitcnt vmcnt(0) lgkmcnt(0)
	v_dot4c_i32_i8_e32 v15, v12, v13
	s_nop 2
	flat_store_dword v[8:9], v15 offset:204
	flat_load_dword v12, v[4:5] offset:28
	flat_load_dword v13, v[6:7]
	s_waitcnt vmcnt(0) lgkmcnt(0)
	v_dot4c_i32_i8_e32 v16, v12, v13
	s_nop 2
	flat_store_dword v[8:9], v16 offset:224
	flat_load_dword v12, v[4:5] offset:28
	flat_load_dword v13, v[6:7] offset:4
	s_waitcnt vmcnt(0) lgkmcnt(0)
	v_dot4c_i32_i8_e32 v17, v12, v13
	s_nop 2
	flat_store_dword v[8:9], v17 offset:228
	flat_load_dword v12, v[4:5] offset:28
	flat_load_dword v13, v[6:7] offset:8
	;; [unrolled: 6-line block ×3, first 2 shown]
	s_waitcnt vmcnt(0) lgkmcnt(0)
	v_dot4c_i32_i8_e32 v19, v12, v13
	s_nop 2
	flat_store_dword v[8:9], v19 offset:236
	flat_load_dword v14, v[0:1] offset:48
	flat_load_dwordx2 v[12:13], v[10:11]
	s_waitcnt vmcnt(0) lgkmcnt(0)
	v_ashrrev_i32_e32 v15, 31, v14
	v_add_co_u32_e32 v16, vcc, v12, v14
	v_addc_co_u32_e32 v17, vcc, v13, v15, vcc
	flat_load_dwordx4 v[12:15], v[16:17] offset:512
	flat_load_dword v20, v[6:7] offset:16
	s_waitcnt vmcnt(0) lgkmcnt(0)
	flat_store_dwordx4 v[6:7], v[12:15]
	flat_load_dword v21, v[4:5] offset:16
	s_nop 0
	flat_load_dwordx4 v[12:15], v[8:9] offset:144
	flat_load_dwordx4 v[16:19], v[8:9] offset:176
	s_waitcnt vmcnt(0) lgkmcnt(0)
	v_dot4c_i32_i8_e32 v12, v21, v20
	s_nop 2
	flat_store_dword v[8:9], v12 offset:144
	flat_load_dword v12, v[4:5] offset:16
	s_nop 0
	flat_load_dword v20, v[6:7] offset:20
	s_waitcnt vmcnt(0) lgkmcnt(0)
	v_dot4c_i32_i8_e32 v13, v12, v20
	s_nop 2
	flat_store_dword v[8:9], v13 offset:148
	flat_load_dword v12, v[4:5] offset:16
	s_nop 0
	flat_load_dword v13, v[6:7] offset:24
	s_waitcnt vmcnt(0) lgkmcnt(0)
	v_dot4c_i32_i8_e32 v14, v12, v13
	s_nop 2
	flat_store_dword v[8:9], v14 offset:152
	flat_load_dword v12, v[4:5] offset:16
	flat_load_dword v13, v[6:7] offset:28
	s_waitcnt vmcnt(0) lgkmcnt(0)
	v_dot4c_i32_i8_e32 v15, v12, v13
	s_nop 2
	flat_store_dword v[8:9], v15 offset:156
	flat_load_dword v12, v[4:5] offset:20
	;; [unrolled: 6-line block ×6, first 2 shown]
	flat_load_dword v21, v[6:7] offset:16
	flat_load_dwordx4 v[12:15], v[8:9] offset:208
	s_nop 0
	flat_load_dwordx4 v[16:19], v[8:9] offset:240
	s_waitcnt vmcnt(0) lgkmcnt(0)
	v_dot4c_i32_i8_e32 v12, v20, v21
	s_nop 2
	flat_store_dword v[8:9], v12 offset:208
	flat_load_dword v12, v[4:5] offset:24
	s_nop 0
	flat_load_dword v20, v[6:7] offset:20
	s_waitcnt vmcnt(0) lgkmcnt(0)
	v_dot4c_i32_i8_e32 v13, v12, v20
	s_nop 2
	flat_store_dword v[8:9], v13 offset:212
	flat_load_dword v12, v[4:5] offset:24
	s_nop 0
	flat_load_dword v13, v[6:7] offset:24
	s_waitcnt vmcnt(0) lgkmcnt(0)
	v_dot4c_i32_i8_e32 v14, v12, v13
	s_nop 2
	flat_store_dword v[8:9], v14 offset:216
	flat_load_dword v12, v[4:5] offset:24
	flat_load_dword v13, v[6:7] offset:28
	s_waitcnt vmcnt(0) lgkmcnt(0)
	v_dot4c_i32_i8_e32 v15, v12, v13
	s_nop 2
	flat_store_dword v[8:9], v15 offset:220
	flat_load_dword v12, v[4:5] offset:28
	;; [unrolled: 6-line block ×6, first 2 shown]
	flat_load_dwordx2 v[12:13], v[10:11]
	s_waitcnt vmcnt(0) lgkmcnt(0)
	v_ashrrev_i32_e32 v15, 31, v14
	v_add_co_u32_e32 v12, vcc, v12, v14
	v_addc_co_u32_e32 v13, vcc, v13, v15, vcc
	flat_load_dwordx4 v[12:15], v[12:13] offset:768
	s_waitcnt vmcnt(0) lgkmcnt(0)
	flat_store_dwordx4 v[6:7], v[12:15] offset:16
	flat_load_dword v14, v[0:1] offset:16
	s_nop 0
	flat_load_dwordx2 v[12:13], v[2:3]
	s_waitcnt vmcnt(0) lgkmcnt(0)
	v_ashrrev_i32_e32 v15, 31, v14
	v_add_co_u32_e32 v16, vcc, v12, v14
	v_addc_co_u32_e32 v17, vcc, v13, v15, vcc
	flat_load_dwordx4 v[12:15], v[16:17] offset:768
	flat_load_dword v20, v[4:5]
	s_waitcnt vmcnt(0) lgkmcnt(0)
	flat_store_dwordx4 v[4:5], v[12:15] offset:16
	flat_load_dword v21, v[6:7]
	flat_load_dwordx4 v[16:19], v[8:9]
	s_nop 0
	flat_load_dwordx4 v[12:15], v[8:9] offset:16
	s_waitcnt vmcnt(0) lgkmcnt(0)
	v_dot4c_i32_i8_e32 v16, v20, v21
	s_nop 2
	flat_store_dword v[8:9], v16
	flat_load_dword v16, v[4:5]
	s_nop 0
	flat_load_dword v20, v[6:7] offset:4
	s_waitcnt vmcnt(0) lgkmcnt(0)
	v_dot4c_i32_i8_e32 v17, v16, v20
	s_nop 2
	flat_store_dword v[8:9], v17 offset:4
	flat_load_dword v16, v[4:5]
	s_nop 0
	flat_load_dword v17, v[6:7] offset:8
	s_waitcnt vmcnt(0) lgkmcnt(0)
	v_dot4c_i32_i8_e32 v18, v16, v17
	s_nop 2
	flat_store_dword v[8:9], v18 offset:8
	flat_load_dword v16, v[4:5]
	flat_load_dword v17, v[6:7] offset:12
	s_waitcnt vmcnt(0) lgkmcnt(0)
	v_dot4c_i32_i8_e32 v19, v16, v17
	s_nop 2
	flat_store_dword v[8:9], v19 offset:12
	flat_load_dword v24, v[4:5] offset:4
	flat_load_dword v25, v[6:7]
	s_nop 0
	flat_load_dwordx4 v[16:19], v[8:9] offset:32
	flat_load_dwordx4 v[20:23], v[8:9] offset:48
	s_waitcnt vmcnt(0) lgkmcnt(0)
	v_dot4c_i32_i8_e32 v16, v24, v25
	s_nop 2
	flat_store_dword v[8:9], v16 offset:32
	flat_load_dword v16, v[4:5] offset:4
	s_nop 0
	flat_load_dword v24, v[6:7] offset:4
	s_waitcnt vmcnt(0) lgkmcnt(0)
	v_dot4c_i32_i8_e32 v17, v16, v24
	s_nop 2
	flat_store_dword v[8:9], v17 offset:36
	flat_load_dword v16, v[4:5] offset:4
	s_nop 0
	flat_load_dword v17, v[6:7] offset:8
	s_waitcnt vmcnt(0) lgkmcnt(0)
	v_dot4c_i32_i8_e32 v18, v16, v17
	s_nop 2
	flat_store_dword v[8:9], v18 offset:40
	flat_load_dword v16, v[4:5] offset:4
	flat_load_dword v17, v[6:7] offset:12
	s_waitcnt vmcnt(0) lgkmcnt(0)
	v_dot4c_i32_i8_e32 v19, v16, v17
	s_nop 2
	flat_store_dword v[8:9], v19 offset:44
	flat_load_dword v28, v[4:5] offset:8
	flat_load_dword v29, v[6:7]
	s_nop 0
	flat_load_dwordx4 v[16:19], v[8:9] offset:64
	flat_load_dwordx4 v[24:27], v[8:9] offset:80
	s_waitcnt vmcnt(0) lgkmcnt(0)
	v_dot4c_i32_i8_e32 v16, v28, v29
	s_nop 2
	flat_store_dword v[8:9], v16 offset:64
	flat_load_dword v16, v[4:5] offset:8
	s_nop 0
	flat_load_dword v28, v[6:7] offset:4
	s_waitcnt vmcnt(0) lgkmcnt(0)
	v_dot4c_i32_i8_e32 v17, v16, v28
	s_nop 2
	flat_store_dword v[8:9], v17 offset:68
	flat_load_dword v16, v[4:5] offset:8
	s_nop 0
	flat_load_dword v17, v[6:7] offset:8
	s_waitcnt vmcnt(0) lgkmcnt(0)
	v_dot4c_i32_i8_e32 v18, v16, v17
	s_nop 2
	flat_store_dword v[8:9], v18 offset:72
	flat_load_dword v16, v[4:5] offset:8
	;; [unrolled: 29-line block ×3, first 2 shown]
	flat_load_dword v17, v[6:7] offset:12
	s_waitcnt vmcnt(0) lgkmcnt(0)
	v_dot4c_i32_i8_e32 v19, v16, v17
	s_nop 2
	flat_store_dword v[8:9], v19 offset:108
	flat_load_dword v16, v[4:5]
	flat_load_dword v17, v[6:7] offset:16
	s_waitcnt vmcnt(0) lgkmcnt(0)
	v_dot4c_i32_i8_e32 v12, v16, v17
	s_nop 2
	flat_store_dword v[8:9], v12 offset:16
	flat_load_dword v12, v[4:5]
	s_nop 0
	flat_load_dword v16, v[6:7] offset:20
	s_waitcnt vmcnt(0) lgkmcnt(0)
	v_dot4c_i32_i8_e32 v13, v12, v16
	s_nop 2
	flat_store_dword v[8:9], v13 offset:20
	flat_load_dword v12, v[4:5]
	s_nop 0
	flat_load_dword v13, v[6:7] offset:24
	s_waitcnt vmcnt(0) lgkmcnt(0)
	v_dot4c_i32_i8_e32 v14, v12, v13
	s_nop 2
	flat_store_dword v[8:9], v14 offset:24
	flat_load_dword v12, v[4:5]
	flat_load_dword v13, v[6:7] offset:28
	s_waitcnt vmcnt(0) lgkmcnt(0)
	v_dot4c_i32_i8_e32 v15, v12, v13
	s_nop 2
	flat_store_dword v[8:9], v15 offset:28
	flat_load_dword v12, v[4:5] offset:4
	flat_load_dword v13, v[6:7] offset:16
	s_waitcnt vmcnt(0) lgkmcnt(0)
	v_dot4c_i32_i8_e32 v20, v12, v13
	s_nop 2
	flat_store_dword v[8:9], v20 offset:48
	flat_load_dword v12, v[4:5] offset:4
	;; [unrolled: 6-line block ×13, first 2 shown]
	flat_load_dwordx2 v[12:13], v[2:3]
	s_waitcnt vmcnt(0) lgkmcnt(0)
	v_ashrrev_i32_e32 v15, 31, v14
	v_add_co_u32_e32 v16, vcc, v12, v14
	v_addc_co_u32_e32 v17, vcc, v13, v15, vcc
	flat_load_dwordx4 v[12:15], v[16:17] offset:1024
	flat_load_dword v20, v[4:5] offset:16
	s_waitcnt vmcnt(0) lgkmcnt(0)
	flat_store_dwordx4 v[4:5], v[12:15]
	flat_load_dword v21, v[6:7]
	s_nop 0
	flat_load_dwordx4 v[12:15], v[8:9] offset:128
	flat_load_dwordx4 v[16:19], v[8:9] offset:160
	s_waitcnt vmcnt(0) lgkmcnt(0)
	v_dot4c_i32_i8_e32 v12, v20, v21
	s_nop 2
	flat_store_dword v[8:9], v12 offset:128
	flat_load_dword v12, v[4:5] offset:16
	s_nop 0
	flat_load_dword v20, v[6:7] offset:4
	s_waitcnt vmcnt(0) lgkmcnt(0)
	v_dot4c_i32_i8_e32 v13, v12, v20
	s_nop 2
	flat_store_dword v[8:9], v13 offset:132
	flat_load_dword v12, v[4:5] offset:16
	s_nop 0
	flat_load_dword v13, v[6:7] offset:8
	s_waitcnt vmcnt(0) lgkmcnt(0)
	v_dot4c_i32_i8_e32 v14, v12, v13
	s_nop 2
	flat_store_dword v[8:9], v14 offset:136
	flat_load_dword v12, v[4:5] offset:16
	flat_load_dword v13, v[6:7] offset:12
	s_waitcnt vmcnt(0) lgkmcnt(0)
	v_dot4c_i32_i8_e32 v15, v12, v13
	s_nop 2
	flat_store_dword v[8:9], v15 offset:140
	flat_load_dword v12, v[4:5] offset:20
	flat_load_dword v13, v[6:7]
	s_waitcnt vmcnt(0) lgkmcnt(0)
	v_dot4c_i32_i8_e32 v16, v12, v13
	s_nop 2
	flat_store_dword v[8:9], v16 offset:160
	flat_load_dword v12, v[4:5] offset:20
	flat_load_dword v13, v[6:7] offset:4
	s_waitcnt vmcnt(0) lgkmcnt(0)
	v_dot4c_i32_i8_e32 v17, v12, v13
	s_nop 2
	flat_store_dword v[8:9], v17 offset:164
	flat_load_dword v12, v[4:5] offset:20
	flat_load_dword v13, v[6:7] offset:8
	;; [unrolled: 6-line block ×3, first 2 shown]
	s_waitcnt vmcnt(0) lgkmcnt(0)
	v_dot4c_i32_i8_e32 v19, v12, v13
	s_nop 2
	flat_store_dword v[8:9], v19 offset:172
	flat_load_dword v20, v[4:5] offset:24
	flat_load_dword v21, v[6:7]
	flat_load_dwordx4 v[12:15], v[8:9] offset:192
	s_nop 0
	flat_load_dwordx4 v[16:19], v[8:9] offset:224
	s_waitcnt vmcnt(0) lgkmcnt(0)
	v_dot4c_i32_i8_e32 v12, v20, v21
	s_nop 2
	flat_store_dword v[8:9], v12 offset:192
	flat_load_dword v12, v[4:5] offset:24
	s_nop 0
	flat_load_dword v20, v[6:7] offset:4
	s_waitcnt vmcnt(0) lgkmcnt(0)
	v_dot4c_i32_i8_e32 v13, v12, v20
	s_nop 2
	flat_store_dword v[8:9], v13 offset:196
	flat_load_dword v12, v[4:5] offset:24
	s_nop 0
	flat_load_dword v13, v[6:7] offset:8
	s_waitcnt vmcnt(0) lgkmcnt(0)
	v_dot4c_i32_i8_e32 v14, v12, v13
	s_nop 2
	flat_store_dword v[8:9], v14 offset:200
	flat_load_dword v12, v[4:5] offset:24
	flat_load_dword v13, v[6:7] offset:12
	s_waitcnt vmcnt(0) lgkmcnt(0)
	v_dot4c_i32_i8_e32 v15, v12, v13
	s_nop 2
	flat_store_dword v[8:9], v15 offset:204
	flat_load_dword v12, v[4:5] offset:28
	flat_load_dword v13, v[6:7]
	s_waitcnt vmcnt(0) lgkmcnt(0)
	v_dot4c_i32_i8_e32 v16, v12, v13
	s_nop 2
	flat_store_dword v[8:9], v16 offset:224
	flat_load_dword v12, v[4:5] offset:28
	flat_load_dword v13, v[6:7] offset:4
	s_waitcnt vmcnt(0) lgkmcnt(0)
	v_dot4c_i32_i8_e32 v17, v12, v13
	s_nop 2
	flat_store_dword v[8:9], v17 offset:228
	flat_load_dword v12, v[4:5] offset:28
	flat_load_dword v13, v[6:7] offset:8
	;; [unrolled: 6-line block ×3, first 2 shown]
	s_waitcnt vmcnt(0) lgkmcnt(0)
	v_dot4c_i32_i8_e32 v19, v12, v13
	s_nop 2
	flat_store_dword v[8:9], v19 offset:236
	flat_load_dword v14, v[0:1] offset:48
	flat_load_dwordx2 v[12:13], v[10:11]
	s_waitcnt vmcnt(0) lgkmcnt(0)
	v_ashrrev_i32_e32 v15, 31, v14
	v_add_co_u32_e32 v16, vcc, v12, v14
	v_addc_co_u32_e32 v17, vcc, v13, v15, vcc
	flat_load_dwordx4 v[12:15], v[16:17] offset:1024
	flat_load_dword v20, v[6:7] offset:16
	s_waitcnt vmcnt(0) lgkmcnt(0)
	flat_store_dwordx4 v[6:7], v[12:15]
	flat_load_dword v21, v[4:5] offset:16
	s_nop 0
	flat_load_dwordx4 v[12:15], v[8:9] offset:144
	flat_load_dwordx4 v[16:19], v[8:9] offset:176
	s_waitcnt vmcnt(0) lgkmcnt(0)
	v_dot4c_i32_i8_e32 v12, v21, v20
	s_nop 2
	flat_store_dword v[8:9], v12 offset:144
	flat_load_dword v12, v[4:5] offset:16
	s_nop 0
	flat_load_dword v20, v[6:7] offset:20
	s_waitcnt vmcnt(0) lgkmcnt(0)
	v_dot4c_i32_i8_e32 v13, v12, v20
	s_nop 2
	flat_store_dword v[8:9], v13 offset:148
	flat_load_dword v12, v[4:5] offset:16
	s_nop 0
	flat_load_dword v13, v[6:7] offset:24
	s_waitcnt vmcnt(0) lgkmcnt(0)
	v_dot4c_i32_i8_e32 v14, v12, v13
	s_nop 2
	flat_store_dword v[8:9], v14 offset:152
	flat_load_dword v12, v[4:5] offset:16
	flat_load_dword v13, v[6:7] offset:28
	s_waitcnt vmcnt(0) lgkmcnt(0)
	v_dot4c_i32_i8_e32 v15, v12, v13
	s_nop 2
	flat_store_dword v[8:9], v15 offset:156
	flat_load_dword v12, v[4:5] offset:20
	;; [unrolled: 6-line block ×6, first 2 shown]
	flat_load_dword v21, v[6:7] offset:16
	flat_load_dwordx4 v[12:15], v[8:9] offset:208
	s_nop 0
	flat_load_dwordx4 v[16:19], v[8:9] offset:240
	s_waitcnt vmcnt(0) lgkmcnt(0)
	v_dot4c_i32_i8_e32 v12, v20, v21
	s_nop 2
	flat_store_dword v[8:9], v12 offset:208
	flat_load_dword v12, v[4:5] offset:24
	s_nop 0
	flat_load_dword v20, v[6:7] offset:20
	s_waitcnt vmcnt(0) lgkmcnt(0)
	v_dot4c_i32_i8_e32 v13, v12, v20
	s_nop 2
	flat_store_dword v[8:9], v13 offset:212
	flat_load_dword v12, v[4:5] offset:24
	s_nop 0
	flat_load_dword v13, v[6:7] offset:24
	s_waitcnt vmcnt(0) lgkmcnt(0)
	v_dot4c_i32_i8_e32 v14, v12, v13
	s_nop 2
	flat_store_dword v[8:9], v14 offset:216
	flat_load_dword v12, v[4:5] offset:24
	flat_load_dword v13, v[6:7] offset:28
	s_waitcnt vmcnt(0) lgkmcnt(0)
	v_dot4c_i32_i8_e32 v15, v12, v13
	s_nop 2
	flat_store_dword v[8:9], v15 offset:220
	flat_load_dword v12, v[4:5] offset:28
	;; [unrolled: 6-line block ×6, first 2 shown]
	flat_load_dwordx2 v[12:13], v[10:11]
	s_waitcnt vmcnt(0) lgkmcnt(0)
	v_ashrrev_i32_e32 v15, 31, v14
	v_add_co_u32_e32 v12, vcc, v12, v14
	v_addc_co_u32_e32 v13, vcc, v13, v15, vcc
	flat_load_dwordx4 v[12:15], v[12:13] offset:1280
	s_waitcnt vmcnt(0) lgkmcnt(0)
	flat_store_dwordx4 v[6:7], v[12:15] offset:16
	flat_load_dword v14, v[0:1] offset:16
	s_nop 0
	flat_load_dwordx2 v[12:13], v[2:3]
	s_waitcnt vmcnt(0) lgkmcnt(0)
	v_ashrrev_i32_e32 v15, 31, v14
	v_add_co_u32_e32 v16, vcc, v12, v14
	v_addc_co_u32_e32 v17, vcc, v13, v15, vcc
	flat_load_dwordx4 v[12:15], v[16:17] offset:1280
	flat_load_dword v20, v[4:5]
	s_waitcnt vmcnt(0) lgkmcnt(0)
	flat_store_dwordx4 v[4:5], v[12:15] offset:16
	flat_load_dword v21, v[6:7]
	flat_load_dwordx4 v[16:19], v[8:9]
	s_nop 0
	flat_load_dwordx4 v[12:15], v[8:9] offset:16
	s_waitcnt vmcnt(0) lgkmcnt(0)
	v_dot4c_i32_i8_e32 v16, v20, v21
	s_nop 2
	flat_store_dword v[8:9], v16
	flat_load_dword v16, v[4:5]
	s_nop 0
	flat_load_dword v20, v[6:7] offset:4
	s_waitcnt vmcnt(0) lgkmcnt(0)
	v_dot4c_i32_i8_e32 v17, v16, v20
	s_nop 2
	flat_store_dword v[8:9], v17 offset:4
	flat_load_dword v16, v[4:5]
	s_nop 0
	flat_load_dword v17, v[6:7] offset:8
	s_waitcnt vmcnt(0) lgkmcnt(0)
	v_dot4c_i32_i8_e32 v18, v16, v17
	s_nop 2
	flat_store_dword v[8:9], v18 offset:8
	flat_load_dword v16, v[4:5]
	flat_load_dword v17, v[6:7] offset:12
	s_waitcnt vmcnt(0) lgkmcnt(0)
	v_dot4c_i32_i8_e32 v19, v16, v17
	s_nop 2
	flat_store_dword v[8:9], v19 offset:12
	flat_load_dword v24, v[4:5] offset:4
	flat_load_dword v25, v[6:7]
	s_nop 0
	flat_load_dwordx4 v[16:19], v[8:9] offset:32
	flat_load_dwordx4 v[20:23], v[8:9] offset:48
	s_waitcnt vmcnt(0) lgkmcnt(0)
	v_dot4c_i32_i8_e32 v16, v24, v25
	s_nop 2
	flat_store_dword v[8:9], v16 offset:32
	flat_load_dword v16, v[4:5] offset:4
	s_nop 0
	flat_load_dword v24, v[6:7] offset:4
	s_waitcnt vmcnt(0) lgkmcnt(0)
	v_dot4c_i32_i8_e32 v17, v16, v24
	s_nop 2
	flat_store_dword v[8:9], v17 offset:36
	flat_load_dword v16, v[4:5] offset:4
	s_nop 0
	flat_load_dword v17, v[6:7] offset:8
	s_waitcnt vmcnt(0) lgkmcnt(0)
	v_dot4c_i32_i8_e32 v18, v16, v17
	s_nop 2
	flat_store_dword v[8:9], v18 offset:40
	flat_load_dword v16, v[4:5] offset:4
	flat_load_dword v17, v[6:7] offset:12
	s_waitcnt vmcnt(0) lgkmcnt(0)
	v_dot4c_i32_i8_e32 v19, v16, v17
	s_nop 2
	flat_store_dword v[8:9], v19 offset:44
	flat_load_dword v28, v[4:5] offset:8
	flat_load_dword v29, v[6:7]
	s_nop 0
	flat_load_dwordx4 v[16:19], v[8:9] offset:64
	flat_load_dwordx4 v[24:27], v[8:9] offset:80
	s_waitcnt vmcnt(0) lgkmcnt(0)
	v_dot4c_i32_i8_e32 v16, v28, v29
	s_nop 2
	flat_store_dword v[8:9], v16 offset:64
	flat_load_dword v16, v[4:5] offset:8
	s_nop 0
	flat_load_dword v28, v[6:7] offset:4
	s_waitcnt vmcnt(0) lgkmcnt(0)
	v_dot4c_i32_i8_e32 v17, v16, v28
	s_nop 2
	flat_store_dword v[8:9], v17 offset:68
	flat_load_dword v16, v[4:5] offset:8
	s_nop 0
	flat_load_dword v17, v[6:7] offset:8
	s_waitcnt vmcnt(0) lgkmcnt(0)
	v_dot4c_i32_i8_e32 v18, v16, v17
	s_nop 2
	flat_store_dword v[8:9], v18 offset:72
	flat_load_dword v16, v[4:5] offset:8
	;; [unrolled: 29-line block ×3, first 2 shown]
	flat_load_dword v17, v[6:7] offset:12
	s_waitcnt vmcnt(0) lgkmcnt(0)
	v_dot4c_i32_i8_e32 v19, v16, v17
	s_nop 2
	flat_store_dword v[8:9], v19 offset:108
	flat_load_dword v16, v[4:5]
	flat_load_dword v17, v[6:7] offset:16
	s_waitcnt vmcnt(0) lgkmcnt(0)
	v_dot4c_i32_i8_e32 v12, v16, v17
	s_nop 2
	flat_store_dword v[8:9], v12 offset:16
	flat_load_dword v12, v[4:5]
	s_nop 0
	flat_load_dword v16, v[6:7] offset:20
	s_waitcnt vmcnt(0) lgkmcnt(0)
	v_dot4c_i32_i8_e32 v13, v12, v16
	s_nop 2
	flat_store_dword v[8:9], v13 offset:20
	flat_load_dword v12, v[4:5]
	s_nop 0
	flat_load_dword v13, v[6:7] offset:24
	s_waitcnt vmcnt(0) lgkmcnt(0)
	v_dot4c_i32_i8_e32 v14, v12, v13
	s_nop 2
	flat_store_dword v[8:9], v14 offset:24
	flat_load_dword v12, v[4:5]
	flat_load_dword v13, v[6:7] offset:28
	s_waitcnt vmcnt(0) lgkmcnt(0)
	v_dot4c_i32_i8_e32 v15, v12, v13
	s_nop 2
	flat_store_dword v[8:9], v15 offset:28
	flat_load_dword v12, v[4:5] offset:4
	flat_load_dword v13, v[6:7] offset:16
	s_waitcnt vmcnt(0) lgkmcnt(0)
	v_dot4c_i32_i8_e32 v20, v12, v13
	s_nop 2
	flat_store_dword v[8:9], v20 offset:48
	flat_load_dword v12, v[4:5] offset:4
	;; [unrolled: 6-line block ×13, first 2 shown]
	flat_load_dwordx2 v[12:13], v[2:3]
	s_waitcnt vmcnt(0) lgkmcnt(0)
	v_ashrrev_i32_e32 v15, 31, v14
	v_add_co_u32_e32 v16, vcc, v12, v14
	v_addc_co_u32_e32 v17, vcc, v13, v15, vcc
	flat_load_dwordx4 v[12:15], v[16:17] offset:1536
	flat_load_dword v20, v[4:5] offset:16
	s_waitcnt vmcnt(0) lgkmcnt(0)
	flat_store_dwordx4 v[4:5], v[12:15]
	flat_load_dword v21, v[6:7]
	s_nop 0
	flat_load_dwordx4 v[12:15], v[8:9] offset:128
	flat_load_dwordx4 v[16:19], v[8:9] offset:160
	s_waitcnt vmcnt(0) lgkmcnt(0)
	v_dot4c_i32_i8_e32 v12, v20, v21
	s_nop 2
	flat_store_dword v[8:9], v12 offset:128
	flat_load_dword v12, v[4:5] offset:16
	s_nop 0
	flat_load_dword v20, v[6:7] offset:4
	s_waitcnt vmcnt(0) lgkmcnt(0)
	v_dot4c_i32_i8_e32 v13, v12, v20
	s_nop 2
	flat_store_dword v[8:9], v13 offset:132
	flat_load_dword v12, v[4:5] offset:16
	s_nop 0
	flat_load_dword v13, v[6:7] offset:8
	s_waitcnt vmcnt(0) lgkmcnt(0)
	v_dot4c_i32_i8_e32 v14, v12, v13
	s_nop 2
	flat_store_dword v[8:9], v14 offset:136
	flat_load_dword v12, v[4:5] offset:16
	flat_load_dword v13, v[6:7] offset:12
	s_waitcnt vmcnt(0) lgkmcnt(0)
	v_dot4c_i32_i8_e32 v15, v12, v13
	s_nop 2
	flat_store_dword v[8:9], v15 offset:140
	flat_load_dword v12, v[4:5] offset:20
	flat_load_dword v13, v[6:7]
	s_waitcnt vmcnt(0) lgkmcnt(0)
	v_dot4c_i32_i8_e32 v16, v12, v13
	s_nop 2
	flat_store_dword v[8:9], v16 offset:160
	flat_load_dword v12, v[4:5] offset:20
	flat_load_dword v13, v[6:7] offset:4
	s_waitcnt vmcnt(0) lgkmcnt(0)
	v_dot4c_i32_i8_e32 v17, v12, v13
	s_nop 2
	flat_store_dword v[8:9], v17 offset:164
	flat_load_dword v12, v[4:5] offset:20
	flat_load_dword v13, v[6:7] offset:8
	;; [unrolled: 6-line block ×3, first 2 shown]
	s_waitcnt vmcnt(0) lgkmcnt(0)
	v_dot4c_i32_i8_e32 v19, v12, v13
	s_nop 2
	flat_store_dword v[8:9], v19 offset:172
	flat_load_dword v20, v[4:5] offset:24
	flat_load_dword v21, v[6:7]
	flat_load_dwordx4 v[12:15], v[8:9] offset:192
	s_nop 0
	flat_load_dwordx4 v[16:19], v[8:9] offset:224
	s_waitcnt vmcnt(0) lgkmcnt(0)
	v_dot4c_i32_i8_e32 v12, v20, v21
	s_nop 2
	flat_store_dword v[8:9], v12 offset:192
	flat_load_dword v12, v[4:5] offset:24
	s_nop 0
	flat_load_dword v20, v[6:7] offset:4
	s_waitcnt vmcnt(0) lgkmcnt(0)
	v_dot4c_i32_i8_e32 v13, v12, v20
	s_nop 2
	flat_store_dword v[8:9], v13 offset:196
	flat_load_dword v12, v[4:5] offset:24
	s_nop 0
	flat_load_dword v13, v[6:7] offset:8
	s_waitcnt vmcnt(0) lgkmcnt(0)
	v_dot4c_i32_i8_e32 v14, v12, v13
	s_nop 2
	flat_store_dword v[8:9], v14 offset:200
	flat_load_dword v12, v[4:5] offset:24
	flat_load_dword v13, v[6:7] offset:12
	s_waitcnt vmcnt(0) lgkmcnt(0)
	v_dot4c_i32_i8_e32 v15, v12, v13
	s_nop 2
	flat_store_dword v[8:9], v15 offset:204
	flat_load_dword v12, v[4:5] offset:28
	flat_load_dword v13, v[6:7]
	s_waitcnt vmcnt(0) lgkmcnt(0)
	v_dot4c_i32_i8_e32 v16, v12, v13
	s_nop 2
	flat_store_dword v[8:9], v16 offset:224
	flat_load_dword v12, v[4:5] offset:28
	flat_load_dword v13, v[6:7] offset:4
	s_waitcnt vmcnt(0) lgkmcnt(0)
	v_dot4c_i32_i8_e32 v17, v12, v13
	s_nop 2
	flat_store_dword v[8:9], v17 offset:228
	flat_load_dword v12, v[4:5] offset:28
	flat_load_dword v13, v[6:7] offset:8
	;; [unrolled: 6-line block ×3, first 2 shown]
	s_waitcnt vmcnt(0) lgkmcnt(0)
	v_dot4c_i32_i8_e32 v19, v12, v13
	s_nop 2
	flat_store_dword v[8:9], v19 offset:236
	flat_load_dword v14, v[0:1] offset:48
	flat_load_dwordx2 v[12:13], v[10:11]
	s_waitcnt vmcnt(0) lgkmcnt(0)
	v_ashrrev_i32_e32 v15, 31, v14
	v_add_co_u32_e32 v16, vcc, v12, v14
	v_addc_co_u32_e32 v17, vcc, v13, v15, vcc
	flat_load_dwordx4 v[12:15], v[16:17] offset:1536
	flat_load_dword v20, v[6:7] offset:16
	s_waitcnt vmcnt(0) lgkmcnt(0)
	flat_store_dwordx4 v[6:7], v[12:15]
	flat_load_dword v21, v[4:5] offset:16
	s_nop 0
	flat_load_dwordx4 v[12:15], v[8:9] offset:144
	flat_load_dwordx4 v[16:19], v[8:9] offset:176
	s_waitcnt vmcnt(0) lgkmcnt(0)
	v_dot4c_i32_i8_e32 v12, v21, v20
	s_nop 2
	flat_store_dword v[8:9], v12 offset:144
	flat_load_dword v12, v[4:5] offset:16
	s_nop 0
	flat_load_dword v20, v[6:7] offset:20
	s_waitcnt vmcnt(0) lgkmcnt(0)
	v_dot4c_i32_i8_e32 v13, v12, v20
	s_nop 2
	flat_store_dword v[8:9], v13 offset:148
	flat_load_dword v12, v[4:5] offset:16
	s_nop 0
	flat_load_dword v13, v[6:7] offset:24
	s_waitcnt vmcnt(0) lgkmcnt(0)
	v_dot4c_i32_i8_e32 v14, v12, v13
	s_nop 2
	flat_store_dword v[8:9], v14 offset:152
	flat_load_dword v12, v[4:5] offset:16
	flat_load_dword v13, v[6:7] offset:28
	s_waitcnt vmcnt(0) lgkmcnt(0)
	v_dot4c_i32_i8_e32 v15, v12, v13
	s_nop 2
	flat_store_dword v[8:9], v15 offset:156
	flat_load_dword v12, v[4:5] offset:20
	;; [unrolled: 6-line block ×6, first 2 shown]
	flat_load_dword v21, v[6:7] offset:16
	flat_load_dwordx4 v[12:15], v[8:9] offset:208
	s_nop 0
	flat_load_dwordx4 v[16:19], v[8:9] offset:240
	s_waitcnt vmcnt(0) lgkmcnt(0)
	v_dot4c_i32_i8_e32 v12, v20, v21
	s_nop 2
	flat_store_dword v[8:9], v12 offset:208
	flat_load_dword v12, v[4:5] offset:24
	s_nop 0
	flat_load_dword v20, v[6:7] offset:20
	s_waitcnt vmcnt(0) lgkmcnt(0)
	v_dot4c_i32_i8_e32 v13, v12, v20
	s_nop 2
	flat_store_dword v[8:9], v13 offset:212
	flat_load_dword v12, v[4:5] offset:24
	s_nop 0
	flat_load_dword v13, v[6:7] offset:24
	s_waitcnt vmcnt(0) lgkmcnt(0)
	v_dot4c_i32_i8_e32 v14, v12, v13
	s_nop 2
	flat_store_dword v[8:9], v14 offset:216
	flat_load_dword v12, v[4:5] offset:24
	flat_load_dword v13, v[6:7] offset:28
	s_waitcnt vmcnt(0) lgkmcnt(0)
	v_dot4c_i32_i8_e32 v15, v12, v13
	s_nop 2
	flat_store_dword v[8:9], v15 offset:220
	flat_load_dword v12, v[4:5] offset:28
	;; [unrolled: 6-line block ×6, first 2 shown]
	flat_load_dwordx2 v[12:13], v[10:11]
	s_waitcnt vmcnt(0) lgkmcnt(0)
	v_ashrrev_i32_e32 v15, 31, v14
	v_add_co_u32_e32 v12, vcc, v12, v14
	v_addc_co_u32_e32 v13, vcc, v13, v15, vcc
	flat_load_dwordx4 v[12:15], v[12:13] offset:1792
	s_waitcnt vmcnt(0) lgkmcnt(0)
	flat_store_dwordx4 v[6:7], v[12:15] offset:16
	flat_load_dword v14, v[0:1] offset:16
	s_nop 0
	flat_load_dwordx2 v[12:13], v[2:3]
	s_waitcnt vmcnt(0) lgkmcnt(0)
	v_ashrrev_i32_e32 v15, 31, v14
	v_add_co_u32_e32 v16, vcc, v12, v14
	v_addc_co_u32_e32 v17, vcc, v13, v15, vcc
	flat_load_dwordx4 v[12:15], v[16:17] offset:1792
	flat_load_dword v20, v[4:5]
	s_waitcnt vmcnt(0) lgkmcnt(0)
	flat_store_dwordx4 v[4:5], v[12:15] offset:16
	flat_load_dword v21, v[6:7]
	flat_load_dwordx4 v[16:19], v[8:9]
	s_nop 0
	flat_load_dwordx4 v[12:15], v[8:9] offset:16
	s_waitcnt vmcnt(0) lgkmcnt(0)
	v_dot4c_i32_i8_e32 v16, v20, v21
	s_nop 2
	flat_store_dword v[8:9], v16
	flat_load_dword v16, v[4:5]
	s_nop 0
	flat_load_dword v20, v[6:7] offset:4
	s_waitcnt vmcnt(0) lgkmcnt(0)
	v_dot4c_i32_i8_e32 v17, v16, v20
	s_nop 2
	flat_store_dword v[8:9], v17 offset:4
	flat_load_dword v16, v[4:5]
	s_nop 0
	flat_load_dword v17, v[6:7] offset:8
	s_waitcnt vmcnt(0) lgkmcnt(0)
	v_dot4c_i32_i8_e32 v18, v16, v17
	s_nop 2
	flat_store_dword v[8:9], v18 offset:8
	flat_load_dword v16, v[4:5]
	flat_load_dword v17, v[6:7] offset:12
	s_waitcnt vmcnt(0) lgkmcnt(0)
	v_dot4c_i32_i8_e32 v19, v16, v17
	s_nop 2
	flat_store_dword v[8:9], v19 offset:12
	flat_load_dword v24, v[4:5] offset:4
	flat_load_dword v25, v[6:7]
	s_nop 0
	flat_load_dwordx4 v[16:19], v[8:9] offset:32
	flat_load_dwordx4 v[20:23], v[8:9] offset:48
	s_waitcnt vmcnt(0) lgkmcnt(0)
	v_dot4c_i32_i8_e32 v16, v24, v25
	s_nop 2
	flat_store_dword v[8:9], v16 offset:32
	flat_load_dword v16, v[4:5] offset:4
	s_nop 0
	flat_load_dword v24, v[6:7] offset:4
	s_waitcnt vmcnt(0) lgkmcnt(0)
	v_dot4c_i32_i8_e32 v17, v16, v24
	s_nop 2
	flat_store_dword v[8:9], v17 offset:36
	flat_load_dword v16, v[4:5] offset:4
	s_nop 0
	flat_load_dword v17, v[6:7] offset:8
	s_waitcnt vmcnt(0) lgkmcnt(0)
	v_dot4c_i32_i8_e32 v18, v16, v17
	s_nop 2
	flat_store_dword v[8:9], v18 offset:40
	flat_load_dword v16, v[4:5] offset:4
	flat_load_dword v17, v[6:7] offset:12
	s_waitcnt vmcnt(0) lgkmcnt(0)
	v_dot4c_i32_i8_e32 v19, v16, v17
	s_nop 2
	flat_store_dword v[8:9], v19 offset:44
	flat_load_dword v28, v[4:5] offset:8
	flat_load_dword v29, v[6:7]
	s_nop 0
	flat_load_dwordx4 v[16:19], v[8:9] offset:64
	flat_load_dwordx4 v[24:27], v[8:9] offset:80
	s_waitcnt vmcnt(0) lgkmcnt(0)
	v_dot4c_i32_i8_e32 v16, v28, v29
	s_nop 2
	flat_store_dword v[8:9], v16 offset:64
	flat_load_dword v16, v[4:5] offset:8
	s_nop 0
	flat_load_dword v28, v[6:7] offset:4
	s_waitcnt vmcnt(0) lgkmcnt(0)
	v_dot4c_i32_i8_e32 v17, v16, v28
	s_nop 2
	flat_store_dword v[8:9], v17 offset:68
	flat_load_dword v16, v[4:5] offset:8
	s_nop 0
	flat_load_dword v17, v[6:7] offset:8
	s_waitcnt vmcnt(0) lgkmcnt(0)
	v_dot4c_i32_i8_e32 v18, v16, v17
	s_nop 2
	flat_store_dword v[8:9], v18 offset:72
	flat_load_dword v16, v[4:5] offset:8
	flat_load_dword v17, v[6:7] offset:12
	s_waitcnt vmcnt(0) lgkmcnt(0)
	v_dot4c_i32_i8_e32 v19, v16, v17
	s_nop 2
	flat_store_dword v[8:9], v19 offset:76
	flat_load_dword v32, v[4:5] offset:12
	flat_load_dword v33, v[6:7]
	s_nop 0
	flat_load_dwordx4 v[16:19], v[8:9] offset:96
	flat_load_dwordx4 v[28:31], v[8:9] offset:112
	s_waitcnt vmcnt(0) lgkmcnt(0)
	v_dot4c_i32_i8_e32 v16, v32, v33
	s_nop 2
	flat_store_dword v[8:9], v16 offset:96
	flat_load_dword v16, v[4:5] offset:12
	s_nop 0
	flat_load_dword v32, v[6:7] offset:4
	s_waitcnt vmcnt(0) lgkmcnt(0)
	v_dot4c_i32_i8_e32 v17, v16, v32
	s_nop 2
	flat_store_dword v[8:9], v17 offset:100
	flat_load_dword v16, v[4:5] offset:12
	s_nop 0
	flat_load_dword v17, v[6:7] offset:8
	s_waitcnt vmcnt(0) lgkmcnt(0)
	v_dot4c_i32_i8_e32 v18, v16, v17
	s_nop 2
	flat_store_dword v[8:9], v18 offset:104
	flat_load_dword v16, v[4:5] offset:12
	flat_load_dword v17, v[6:7] offset:12
	s_waitcnt vmcnt(0) lgkmcnt(0)
	v_dot4c_i32_i8_e32 v19, v16, v17
	s_nop 2
	flat_store_dword v[8:9], v19 offset:108
	flat_load_dword v16, v[4:5]
	flat_load_dword v17, v[6:7] offset:16
	s_waitcnt vmcnt(0) lgkmcnt(0)
	v_dot4c_i32_i8_e32 v12, v16, v17
	s_nop 2
	flat_store_dword v[8:9], v12 offset:16
	flat_load_dword v12, v[4:5]
	s_nop 0
	flat_load_dword v16, v[6:7] offset:20
	s_waitcnt vmcnt(0) lgkmcnt(0)
	v_dot4c_i32_i8_e32 v13, v12, v16
	s_nop 2
	flat_store_dword v[8:9], v13 offset:20
	flat_load_dword v12, v[4:5]
	s_nop 0
	flat_load_dword v13, v[6:7] offset:24
	s_waitcnt vmcnt(0) lgkmcnt(0)
	v_dot4c_i32_i8_e32 v14, v12, v13
	s_nop 2
	flat_store_dword v[8:9], v14 offset:24
	flat_load_dword v12, v[4:5]
	flat_load_dword v13, v[6:7] offset:28
	s_waitcnt vmcnt(0) lgkmcnt(0)
	v_dot4c_i32_i8_e32 v15, v12, v13
	s_nop 2
	flat_store_dword v[8:9], v15 offset:28
	flat_load_dword v12, v[4:5] offset:4
	flat_load_dword v13, v[6:7] offset:16
	s_waitcnt vmcnt(0) lgkmcnt(0)
	v_dot4c_i32_i8_e32 v20, v12, v13
	s_nop 2
	flat_store_dword v[8:9], v20 offset:48
	flat_load_dword v12, v[4:5] offset:4
	;; [unrolled: 6-line block ×13, first 2 shown]
	flat_load_dwordx2 v[12:13], v[2:3]
	s_waitcnt vmcnt(0) lgkmcnt(0)
	v_ashrrev_i32_e32 v15, 31, v14
	v_add_co_u32_e32 v16, vcc, v12, v14
	v_addc_co_u32_e32 v17, vcc, v13, v15, vcc
	flat_load_dwordx4 v[12:15], v[16:17] offset:2048
	flat_load_dword v20, v[4:5] offset:16
	s_waitcnt vmcnt(0) lgkmcnt(0)
	flat_store_dwordx4 v[4:5], v[12:15]
	flat_load_dword v21, v[6:7]
	s_nop 0
	flat_load_dwordx4 v[12:15], v[8:9] offset:128
	flat_load_dwordx4 v[16:19], v[8:9] offset:160
	s_waitcnt vmcnt(0) lgkmcnt(0)
	v_dot4c_i32_i8_e32 v12, v20, v21
	s_nop 2
	flat_store_dword v[8:9], v12 offset:128
	flat_load_dword v12, v[4:5] offset:16
	s_nop 0
	flat_load_dword v20, v[6:7] offset:4
	s_waitcnt vmcnt(0) lgkmcnt(0)
	v_dot4c_i32_i8_e32 v13, v12, v20
	s_nop 2
	flat_store_dword v[8:9], v13 offset:132
	flat_load_dword v12, v[4:5] offset:16
	s_nop 0
	flat_load_dword v13, v[6:7] offset:8
	s_waitcnt vmcnt(0) lgkmcnt(0)
	v_dot4c_i32_i8_e32 v14, v12, v13
	s_nop 2
	flat_store_dword v[8:9], v14 offset:136
	flat_load_dword v12, v[4:5] offset:16
	flat_load_dword v13, v[6:7] offset:12
	s_waitcnt vmcnt(0) lgkmcnt(0)
	v_dot4c_i32_i8_e32 v15, v12, v13
	s_nop 2
	flat_store_dword v[8:9], v15 offset:140
	flat_load_dword v12, v[4:5] offset:20
	flat_load_dword v13, v[6:7]
	s_waitcnt vmcnt(0) lgkmcnt(0)
	v_dot4c_i32_i8_e32 v16, v12, v13
	s_nop 2
	flat_store_dword v[8:9], v16 offset:160
	flat_load_dword v12, v[4:5] offset:20
	flat_load_dword v13, v[6:7] offset:4
	s_waitcnt vmcnt(0) lgkmcnt(0)
	v_dot4c_i32_i8_e32 v17, v12, v13
	s_nop 2
	flat_store_dword v[8:9], v17 offset:164
	flat_load_dword v12, v[4:5] offset:20
	flat_load_dword v13, v[6:7] offset:8
	;; [unrolled: 6-line block ×3, first 2 shown]
	s_waitcnt vmcnt(0) lgkmcnt(0)
	v_dot4c_i32_i8_e32 v19, v12, v13
	s_nop 2
	flat_store_dword v[8:9], v19 offset:172
	flat_load_dword v20, v[4:5] offset:24
	flat_load_dword v21, v[6:7]
	flat_load_dwordx4 v[12:15], v[8:9] offset:192
	s_nop 0
	flat_load_dwordx4 v[16:19], v[8:9] offset:224
	s_waitcnt vmcnt(0) lgkmcnt(0)
	v_dot4c_i32_i8_e32 v12, v20, v21
	s_nop 2
	flat_store_dword v[8:9], v12 offset:192
	flat_load_dword v12, v[4:5] offset:24
	s_nop 0
	flat_load_dword v20, v[6:7] offset:4
	s_waitcnt vmcnt(0) lgkmcnt(0)
	v_dot4c_i32_i8_e32 v13, v12, v20
	s_nop 2
	flat_store_dword v[8:9], v13 offset:196
	flat_load_dword v12, v[4:5] offset:24
	s_nop 0
	flat_load_dword v13, v[6:7] offset:8
	s_waitcnt vmcnt(0) lgkmcnt(0)
	v_dot4c_i32_i8_e32 v14, v12, v13
	s_nop 2
	flat_store_dword v[8:9], v14 offset:200
	flat_load_dword v12, v[4:5] offset:24
	flat_load_dword v13, v[6:7] offset:12
	s_waitcnt vmcnt(0) lgkmcnt(0)
	v_dot4c_i32_i8_e32 v15, v12, v13
	s_nop 2
	flat_store_dword v[8:9], v15 offset:204
	flat_load_dword v12, v[4:5] offset:28
	flat_load_dword v13, v[6:7]
	s_waitcnt vmcnt(0) lgkmcnt(0)
	v_dot4c_i32_i8_e32 v16, v12, v13
	s_nop 2
	flat_store_dword v[8:9], v16 offset:224
	flat_load_dword v12, v[4:5] offset:28
	flat_load_dword v13, v[6:7] offset:4
	s_waitcnt vmcnt(0) lgkmcnt(0)
	v_dot4c_i32_i8_e32 v17, v12, v13
	s_nop 2
	flat_store_dword v[8:9], v17 offset:228
	flat_load_dword v12, v[4:5] offset:28
	flat_load_dword v13, v[6:7] offset:8
	;; [unrolled: 6-line block ×3, first 2 shown]
	s_waitcnt vmcnt(0) lgkmcnt(0)
	v_dot4c_i32_i8_e32 v19, v12, v13
	s_nop 2
	flat_store_dword v[8:9], v19 offset:236
	flat_load_dword v14, v[0:1] offset:48
	flat_load_dwordx2 v[12:13], v[10:11]
	s_waitcnt vmcnt(0) lgkmcnt(0)
	v_ashrrev_i32_e32 v15, 31, v14
	v_add_co_u32_e32 v16, vcc, v12, v14
	v_addc_co_u32_e32 v17, vcc, v13, v15, vcc
	flat_load_dwordx4 v[12:15], v[16:17] offset:2048
	flat_load_dword v20, v[6:7] offset:16
	s_waitcnt vmcnt(0) lgkmcnt(0)
	flat_store_dwordx4 v[6:7], v[12:15]
	flat_load_dword v21, v[4:5] offset:16
	s_nop 0
	flat_load_dwordx4 v[12:15], v[8:9] offset:144
	flat_load_dwordx4 v[16:19], v[8:9] offset:176
	s_waitcnt vmcnt(0) lgkmcnt(0)
	v_dot4c_i32_i8_e32 v12, v21, v20
	s_nop 2
	flat_store_dword v[8:9], v12 offset:144
	flat_load_dword v12, v[4:5] offset:16
	s_nop 0
	flat_load_dword v20, v[6:7] offset:20
	s_waitcnt vmcnt(0) lgkmcnt(0)
	v_dot4c_i32_i8_e32 v13, v12, v20
	s_nop 2
	flat_store_dword v[8:9], v13 offset:148
	flat_load_dword v12, v[4:5] offset:16
	s_nop 0
	flat_load_dword v13, v[6:7] offset:24
	s_waitcnt vmcnt(0) lgkmcnt(0)
	v_dot4c_i32_i8_e32 v14, v12, v13
	s_nop 2
	flat_store_dword v[8:9], v14 offset:152
	flat_load_dword v12, v[4:5] offset:16
	flat_load_dword v13, v[6:7] offset:28
	s_waitcnt vmcnt(0) lgkmcnt(0)
	v_dot4c_i32_i8_e32 v15, v12, v13
	s_nop 2
	flat_store_dword v[8:9], v15 offset:156
	flat_load_dword v12, v[4:5] offset:20
	flat_load_dword v13, v[6:7] offset:16
	s_waitcnt vmcnt(0) lgkmcnt(0)
	v_dot4c_i32_i8_e32 v16, v12, v13
	s_nop 2
	flat_store_dword v[8:9], v16 offset:176
	flat_load_dword v12, v[4:5] offset:20
	flat_load_dword v13, v[6:7] offset:20
	s_waitcnt vmcnt(0) lgkmcnt(0)
	v_dot4c_i32_i8_e32 v17, v12, v13
	s_nop 2
	flat_store_dword v[8:9], v17 offset:180
	flat_load_dword v12, v[4:5] offset:20
	flat_load_dword v13, v[6:7] offset:24
	s_waitcnt vmcnt(0) lgkmcnt(0)
	v_dot4c_i32_i8_e32 v18, v12, v13
	s_nop 2
	flat_store_dword v[8:9], v18 offset:184
	flat_load_dword v12, v[4:5] offset:20
	flat_load_dword v13, v[6:7] offset:28
	s_waitcnt vmcnt(0) lgkmcnt(0)
	v_dot4c_i32_i8_e32 v19, v12, v13
	s_nop 2
	flat_store_dword v[8:9], v19 offset:188
	flat_load_dword v20, v[4:5] offset:24
	flat_load_dword v21, v[6:7] offset:16
	flat_load_dwordx4 v[12:15], v[8:9] offset:208
	s_nop 0
	flat_load_dwordx4 v[16:19], v[8:9] offset:240
	s_waitcnt vmcnt(0) lgkmcnt(0)
	v_dot4c_i32_i8_e32 v12, v20, v21
	s_nop 2
	flat_store_dword v[8:9], v12 offset:208
	flat_load_dword v12, v[4:5] offset:24
	s_nop 0
	flat_load_dword v20, v[6:7] offset:20
	s_waitcnt vmcnt(0) lgkmcnt(0)
	v_dot4c_i32_i8_e32 v13, v12, v20
	s_nop 2
	flat_store_dword v[8:9], v13 offset:212
	flat_load_dword v12, v[4:5] offset:24
	s_nop 0
	flat_load_dword v13, v[6:7] offset:24
	s_waitcnt vmcnt(0) lgkmcnt(0)
	v_dot4c_i32_i8_e32 v14, v12, v13
	s_nop 2
	flat_store_dword v[8:9], v14 offset:216
	flat_load_dword v12, v[4:5] offset:24
	flat_load_dword v13, v[6:7] offset:28
	s_waitcnt vmcnt(0) lgkmcnt(0)
	v_dot4c_i32_i8_e32 v15, v12, v13
	s_nop 2
	flat_store_dword v[8:9], v15 offset:220
	flat_load_dword v12, v[4:5] offset:28
	;; [unrolled: 6-line block ×6, first 2 shown]
	flat_load_dwordx2 v[12:13], v[10:11]
	s_waitcnt vmcnt(0) lgkmcnt(0)
	v_ashrrev_i32_e32 v15, 31, v14
	v_add_co_u32_e32 v12, vcc, v12, v14
	v_addc_co_u32_e32 v13, vcc, v13, v15, vcc
	flat_load_dwordx4 v[12:15], v[12:13] offset:2304
	s_waitcnt vmcnt(0) lgkmcnt(0)
	flat_store_dwordx4 v[6:7], v[12:15] offset:16
	flat_load_dword v14, v[0:1] offset:16
	s_nop 0
	flat_load_dwordx2 v[12:13], v[2:3]
	s_waitcnt vmcnt(0) lgkmcnt(0)
	v_ashrrev_i32_e32 v15, 31, v14
	v_add_co_u32_e32 v16, vcc, v12, v14
	v_addc_co_u32_e32 v17, vcc, v13, v15, vcc
	flat_load_dwordx4 v[12:15], v[16:17] offset:2304
	flat_load_dword v20, v[4:5]
	s_waitcnt vmcnt(0) lgkmcnt(0)
	flat_store_dwordx4 v[4:5], v[12:15] offset:16
	flat_load_dword v21, v[6:7]
	s_nop 0
	flat_load_dwordx4 v[12:15], v[8:9]
	flat_load_dwordx4 v[16:19], v[8:9] offset:16
	s_waitcnt vmcnt(0) lgkmcnt(0)
	v_dot4c_i32_i8_e32 v12, v20, v21
	s_nop 2
	flat_store_dword v[8:9], v12
	flat_load_dword v12, v[4:5]
	s_nop 0
	flat_load_dword v20, v[6:7] offset:4
	s_waitcnt vmcnt(0) lgkmcnt(0)
	v_dot4c_i32_i8_e32 v13, v12, v20
	s_nop 2
	flat_store_dword v[8:9], v13 offset:4
	flat_load_dword v12, v[4:5]
	s_nop 0
	flat_load_dword v13, v[6:7] offset:8
	s_waitcnt vmcnt(0) lgkmcnt(0)
	v_dot4c_i32_i8_e32 v14, v12, v13
	s_nop 2
	flat_store_dword v[8:9], v14 offset:8
	flat_load_dword v12, v[4:5]
	flat_load_dword v13, v[6:7] offset:12
	s_waitcnt vmcnt(0) lgkmcnt(0)
	v_dot4c_i32_i8_e32 v15, v12, v13
	s_nop 2
	flat_store_dword v[8:9], v15 offset:12
	flat_load_dword v24, v[4:5] offset:4
	flat_load_dword v25, v[6:7]
	s_nop 0
	flat_load_dwordx4 v[12:15], v[8:9] offset:32
	flat_load_dwordx4 v[20:23], v[8:9] offset:48
	s_waitcnt vmcnt(0) lgkmcnt(0)
	v_dot4c_i32_i8_e32 v12, v24, v25
	s_nop 2
	flat_store_dword v[8:9], v12 offset:32
	flat_load_dword v12, v[4:5] offset:4
	s_nop 0
	flat_load_dword v24, v[6:7] offset:4
	s_waitcnt vmcnt(0) lgkmcnt(0)
	v_dot4c_i32_i8_e32 v13, v12, v24
	s_nop 2
	flat_store_dword v[8:9], v13 offset:36
	flat_load_dword v12, v[4:5] offset:4
	s_nop 0
	flat_load_dword v13, v[6:7] offset:8
	s_waitcnt vmcnt(0) lgkmcnt(0)
	v_dot4c_i32_i8_e32 v14, v12, v13
	s_nop 2
	flat_store_dword v[8:9], v14 offset:40
	flat_load_dword v12, v[4:5] offset:4
	flat_load_dword v13, v[6:7] offset:12
	s_waitcnt vmcnt(0) lgkmcnt(0)
	v_dot4c_i32_i8_e32 v15, v12, v13
	s_nop 2
	flat_store_dword v[8:9], v15 offset:44
	flat_load_dword v24, v[4:5] offset:8
	flat_load_dword v25, v[6:7]
	s_nop 0
	flat_load_dwordx4 v[12:15], v[8:9] offset:64
	s_waitcnt vmcnt(0) lgkmcnt(0)
	v_dot4c_i32_i8_e32 v12, v24, v25
	s_nop 2
	flat_store_dword v[8:9], v12 offset:64
	flat_load_dword v12, v[4:5] offset:8
	s_nop 0
	flat_load_dword v24, v[6:7] offset:4
	s_waitcnt vmcnt(0) lgkmcnt(0)
	v_dot4c_i32_i8_e32 v13, v12, v24
	s_nop 2
	flat_store_dword v[8:9], v13 offset:68
	flat_load_dword v12, v[4:5] offset:8
	s_nop 0
	flat_load_dword v13, v[6:7] offset:8
	s_waitcnt vmcnt(0) lgkmcnt(0)
	v_dot4c_i32_i8_e32 v14, v12, v13
	s_nop 2
	flat_store_dword v[8:9], v14 offset:72
	flat_load_dword v12, v[4:5] offset:8
	flat_load_dword v13, v[6:7] offset:12
	flat_load_dwordx4 v[24:27], v[8:9] offset:96
	s_waitcnt vmcnt(0) lgkmcnt(0)
	v_dot4c_i32_i8_e32 v15, v12, v13
	s_nop 2
	flat_store_dword v[8:9], v15 offset:76
	flat_load_dword v12, v[4:5] offset:12
	flat_load_dword v13, v[6:7]
	s_waitcnt vmcnt(0) lgkmcnt(0)
	v_dot4c_i32_i8_e32 v24, v12, v13
	s_nop 2
	flat_store_dword v[8:9], v24 offset:96
	flat_load_dword v12, v[4:5] offset:12
	flat_load_dword v13, v[6:7] offset:4
	s_waitcnt vmcnt(0) lgkmcnt(0)
	v_dot4c_i32_i8_e32 v25, v12, v13
	s_nop 2
	flat_store_dword v[8:9], v25 offset:100
	flat_load_dword v12, v[4:5] offset:12
	flat_load_dword v13, v[6:7] offset:8
	;; [unrolled: 6-line block ×3, first 2 shown]
	s_waitcnt vmcnt(0) lgkmcnt(0)
	v_dot4c_i32_i8_e32 v27, v12, v13
	s_nop 2
	flat_store_dword v[8:9], v27 offset:108
	flat_load_dword v12, v[4:5]
	flat_load_dword v13, v[6:7] offset:16
	s_waitcnt vmcnt(0) lgkmcnt(0)
	v_dot4c_i32_i8_e32 v16, v12, v13
	s_nop 2
	flat_store_dword v[8:9], v16 offset:16
	flat_load_dword v12, v[4:5]
	flat_load_dword v13, v[6:7] offset:20
	;; [unrolled: 6-line block ×4, first 2 shown]
	s_waitcnt vmcnt(0) lgkmcnt(0)
	v_dot4c_i32_i8_e32 v19, v12, v13
	s_nop 2
	flat_store_dword v[8:9], v19 offset:28
	flat_load_dword v12, v[4:5] offset:4
	flat_load_dword v13, v[6:7] offset:16
	s_waitcnt vmcnt(0) lgkmcnt(0)
	v_dot4c_i32_i8_e32 v20, v12, v13
	s_nop 2
	flat_store_dword v[8:9], v20 offset:48
	flat_load_dword v12, v[4:5] offset:4
	flat_load_dword v13, v[6:7] offset:20
	;; [unrolled: 6-line block ×4, first 2 shown]
	flat_load_dwordx4 v[12:15], v[8:9] offset:80
	s_waitcnt vmcnt(0) lgkmcnt(0)
	v_dot4c_i32_i8_e32 v23, v16, v17
	s_nop 2
	flat_store_dword v[8:9], v23 offset:60
	flat_load_dword v16, v[4:5] offset:8
	flat_load_dword v17, v[6:7] offset:16
	s_waitcnt vmcnt(0) lgkmcnt(0)
	v_dot4c_i32_i8_e32 v12, v16, v17
	s_nop 2
	flat_store_dword v[8:9], v12 offset:80
	flat_load_dword v12, v[4:5] offset:8
	s_nop 0
	flat_load_dword v16, v[6:7] offset:20
	s_waitcnt vmcnt(0) lgkmcnt(0)
	v_dot4c_i32_i8_e32 v13, v12, v16
	s_nop 2
	flat_store_dword v[8:9], v13 offset:84
	flat_load_dword v12, v[4:5] offset:8
	s_nop 0
	flat_load_dword v13, v[6:7] offset:24
	s_waitcnt vmcnt(0) lgkmcnt(0)
	v_dot4c_i32_i8_e32 v14, v12, v13
	s_nop 2
	flat_store_dword v[8:9], v14 offset:88
	flat_load_dword v12, v[4:5] offset:8
	flat_load_dword v13, v[6:7] offset:28
	flat_load_dwordx4 v[16:19], v[8:9] offset:112
	s_waitcnt vmcnt(0) lgkmcnt(0)
	v_dot4c_i32_i8_e32 v15, v12, v13
	s_nop 2
	flat_store_dword v[8:9], v15 offset:92
	flat_load_dword v12, v[4:5] offset:12
	flat_load_dword v13, v[6:7] offset:16
	s_waitcnt vmcnt(0) lgkmcnt(0)
	v_dot4c_i32_i8_e32 v16, v12, v13
	s_nop 2
	flat_store_dword v[8:9], v16 offset:112
	flat_load_dword v12, v[4:5] offset:12
	flat_load_dword v13, v[6:7] offset:20
	;; [unrolled: 6-line block ×4, first 2 shown]
	s_waitcnt vmcnt(0) lgkmcnt(0)
	v_dot4c_i32_i8_e32 v19, v12, v13
	s_nop 2
	flat_store_dword v[8:9], v19 offset:124
	flat_load_dword v14, v[0:1] offset:16
	flat_load_dwordx2 v[12:13], v[2:3]
	s_waitcnt vmcnt(0) lgkmcnt(0)
	v_ashrrev_i32_e32 v15, 31, v14
	v_add_co_u32_e32 v16, vcc, v12, v14
	v_addc_co_u32_e32 v17, vcc, v13, v15, vcc
	flat_load_dwordx4 v[12:15], v[16:17] offset:2560
	flat_load_dword v20, v[4:5] offset:16
	s_waitcnt vmcnt(0) lgkmcnt(0)
	flat_store_dwordx4 v[4:5], v[12:15]
	flat_load_dword v21, v[6:7]
	s_nop 0
	flat_load_dwordx4 v[12:15], v[8:9] offset:128
	flat_load_dwordx4 v[16:19], v[8:9] offset:160
	s_waitcnt vmcnt(0) lgkmcnt(0)
	v_dot4c_i32_i8_e32 v12, v20, v21
	s_nop 2
	flat_store_dword v[8:9], v12 offset:128
	flat_load_dword v12, v[4:5] offset:16
	s_nop 0
	flat_load_dword v20, v[6:7] offset:4
	s_waitcnt vmcnt(0) lgkmcnt(0)
	v_dot4c_i32_i8_e32 v13, v12, v20
	s_nop 2
	flat_store_dword v[8:9], v13 offset:132
	flat_load_dword v12, v[4:5] offset:16
	s_nop 0
	flat_load_dword v13, v[6:7] offset:8
	s_waitcnt vmcnt(0) lgkmcnt(0)
	v_dot4c_i32_i8_e32 v14, v12, v13
	s_nop 2
	flat_store_dword v[8:9], v14 offset:136
	flat_load_dword v12, v[4:5] offset:16
	flat_load_dword v13, v[6:7] offset:12
	s_waitcnt vmcnt(0) lgkmcnt(0)
	v_dot4c_i32_i8_e32 v15, v12, v13
	s_nop 2
	flat_store_dword v[8:9], v15 offset:140
	flat_load_dword v12, v[4:5] offset:20
	flat_load_dword v13, v[6:7]
	s_waitcnt vmcnt(0) lgkmcnt(0)
	v_dot4c_i32_i8_e32 v16, v12, v13
	s_nop 2
	flat_store_dword v[8:9], v16 offset:160
	flat_load_dword v12, v[4:5] offset:20
	flat_load_dword v13, v[6:7] offset:4
	s_waitcnt vmcnt(0) lgkmcnt(0)
	v_dot4c_i32_i8_e32 v17, v12, v13
	s_nop 2
	flat_store_dword v[8:9], v17 offset:164
	flat_load_dword v12, v[4:5] offset:20
	flat_load_dword v13, v[6:7] offset:8
	;; [unrolled: 6-line block ×3, first 2 shown]
	s_waitcnt vmcnt(0) lgkmcnt(0)
	v_dot4c_i32_i8_e32 v19, v12, v13
	s_nop 2
	flat_store_dword v[8:9], v19 offset:172
	flat_load_dword v20, v[4:5] offset:24
	flat_load_dword v21, v[6:7]
	flat_load_dwordx4 v[12:15], v[8:9] offset:192
	s_nop 0
	flat_load_dwordx4 v[16:19], v[8:9] offset:224
	s_waitcnt vmcnt(0) lgkmcnt(0)
	v_dot4c_i32_i8_e32 v12, v20, v21
	s_nop 2
	flat_store_dword v[8:9], v12 offset:192
	flat_load_dword v12, v[4:5] offset:24
	s_nop 0
	flat_load_dword v20, v[6:7] offset:4
	s_waitcnt vmcnt(0) lgkmcnt(0)
	v_dot4c_i32_i8_e32 v13, v12, v20
	s_nop 2
	flat_store_dword v[8:9], v13 offset:196
	flat_load_dword v12, v[4:5] offset:24
	s_nop 0
	flat_load_dword v13, v[6:7] offset:8
	s_waitcnt vmcnt(0) lgkmcnt(0)
	v_dot4c_i32_i8_e32 v14, v12, v13
	s_nop 2
	flat_store_dword v[8:9], v14 offset:200
	flat_load_dword v12, v[4:5] offset:24
	flat_load_dword v13, v[6:7] offset:12
	s_waitcnt vmcnt(0) lgkmcnt(0)
	v_dot4c_i32_i8_e32 v15, v12, v13
	s_nop 2
	flat_store_dword v[8:9], v15 offset:204
	flat_load_dword v12, v[4:5] offset:28
	flat_load_dword v13, v[6:7]
	s_waitcnt vmcnt(0) lgkmcnt(0)
	v_dot4c_i32_i8_e32 v16, v12, v13
	s_nop 2
	flat_store_dword v[8:9], v16 offset:224
	flat_load_dword v12, v[4:5] offset:28
	flat_load_dword v13, v[6:7] offset:4
	s_waitcnt vmcnt(0) lgkmcnt(0)
	v_dot4c_i32_i8_e32 v17, v12, v13
	s_nop 2
	flat_store_dword v[8:9], v17 offset:228
	flat_load_dword v12, v[4:5] offset:28
	flat_load_dword v13, v[6:7] offset:8
	;; [unrolled: 6-line block ×3, first 2 shown]
	s_waitcnt vmcnt(0) lgkmcnt(0)
	v_dot4c_i32_i8_e32 v19, v12, v13
	s_nop 2
	flat_store_dword v[8:9], v19 offset:236
	flat_load_dword v14, v[0:1] offset:48
	flat_load_dwordx2 v[12:13], v[10:11]
	s_waitcnt vmcnt(0) lgkmcnt(0)
	v_ashrrev_i32_e32 v15, 31, v14
	v_add_co_u32_e32 v16, vcc, v12, v14
	v_addc_co_u32_e32 v17, vcc, v13, v15, vcc
	flat_load_dwordx4 v[12:15], v[16:17] offset:2560
	flat_load_dword v20, v[6:7] offset:16
	s_waitcnt vmcnt(0) lgkmcnt(0)
	flat_store_dwordx4 v[6:7], v[12:15]
	flat_load_dword v21, v[4:5] offset:16
	s_nop 0
	flat_load_dwordx4 v[12:15], v[8:9] offset:144
	flat_load_dwordx4 v[16:19], v[8:9] offset:176
	s_waitcnt vmcnt(0) lgkmcnt(0)
	v_dot4c_i32_i8_e32 v12, v21, v20
	s_nop 2
	flat_store_dword v[8:9], v12 offset:144
	flat_load_dword v12, v[4:5] offset:16
	s_nop 0
	flat_load_dword v20, v[6:7] offset:20
	s_waitcnt vmcnt(0) lgkmcnt(0)
	v_dot4c_i32_i8_e32 v13, v12, v20
	s_nop 2
	flat_store_dword v[8:9], v13 offset:148
	flat_load_dword v12, v[4:5] offset:16
	s_nop 0
	flat_load_dword v13, v[6:7] offset:24
	s_waitcnt vmcnt(0) lgkmcnt(0)
	v_dot4c_i32_i8_e32 v14, v12, v13
	s_nop 2
	flat_store_dword v[8:9], v14 offset:152
	flat_load_dword v12, v[4:5] offset:16
	flat_load_dword v13, v[6:7] offset:28
	s_waitcnt vmcnt(0) lgkmcnt(0)
	v_dot4c_i32_i8_e32 v15, v12, v13
	s_nop 2
	flat_store_dword v[8:9], v15 offset:156
	flat_load_dword v12, v[4:5] offset:20
	flat_load_dword v13, v[6:7] offset:16
	s_waitcnt vmcnt(0) lgkmcnt(0)
	v_dot4c_i32_i8_e32 v16, v12, v13
	s_nop 2
	flat_store_dword v[8:9], v16 offset:176
	flat_load_dword v12, v[4:5] offset:20
	flat_load_dword v13, v[6:7] offset:20
	s_waitcnt vmcnt(0) lgkmcnt(0)
	v_dot4c_i32_i8_e32 v17, v12, v13
	s_nop 2
	flat_store_dword v[8:9], v17 offset:180
	flat_load_dword v12, v[4:5] offset:20
	flat_load_dword v13, v[6:7] offset:24
	s_waitcnt vmcnt(0) lgkmcnt(0)
	v_dot4c_i32_i8_e32 v18, v12, v13
	s_nop 2
	flat_store_dword v[8:9], v18 offset:184
	flat_load_dword v12, v[4:5] offset:20
	flat_load_dword v13, v[6:7] offset:28
	s_waitcnt vmcnt(0) lgkmcnt(0)
	v_dot4c_i32_i8_e32 v19, v12, v13
	s_nop 2
	flat_store_dword v[8:9], v19 offset:188
	flat_load_dword v20, v[4:5] offset:24
	flat_load_dword v21, v[6:7] offset:16
	flat_load_dwordx4 v[12:15], v[8:9] offset:208
	s_nop 0
	flat_load_dwordx4 v[16:19], v[8:9] offset:240
	s_waitcnt vmcnt(0) lgkmcnt(0)
	v_dot4c_i32_i8_e32 v12, v20, v21
	s_nop 2
	flat_store_dword v[8:9], v12 offset:208
	flat_load_dword v12, v[4:5] offset:24
	s_nop 0
	flat_load_dword v20, v[6:7] offset:20
	s_waitcnt vmcnt(0) lgkmcnt(0)
	v_dot4c_i32_i8_e32 v13, v12, v20
	s_nop 2
	flat_store_dword v[8:9], v13 offset:212
	flat_load_dword v12, v[4:5] offset:24
	s_nop 0
	flat_load_dword v13, v[6:7] offset:24
	s_waitcnt vmcnt(0) lgkmcnt(0)
	v_dot4c_i32_i8_e32 v14, v12, v13
	s_nop 2
	flat_store_dword v[8:9], v14 offset:216
	flat_load_dword v12, v[4:5] offset:24
	flat_load_dword v13, v[6:7] offset:28
	s_waitcnt vmcnt(0) lgkmcnt(0)
	v_dot4c_i32_i8_e32 v15, v12, v13
	s_nop 2
	flat_store_dword v[8:9], v15 offset:220
	flat_load_dword v12, v[4:5] offset:28
	;; [unrolled: 6-line block ×6, first 2 shown]
	flat_load_dwordx2 v[12:13], v[10:11]
	s_waitcnt vmcnt(0) lgkmcnt(0)
	v_ashrrev_i32_e32 v15, 31, v14
	v_add_co_u32_e32 v12, vcc, v12, v14
	v_addc_co_u32_e32 v13, vcc, v13, v15, vcc
	flat_load_dwordx4 v[12:15], v[12:13] offset:2816
	s_waitcnt vmcnt(0) lgkmcnt(0)
	flat_store_dwordx4 v[6:7], v[12:15] offset:16
	flat_load_dword v14, v[0:1] offset:16
	s_nop 0
	flat_load_dwordx2 v[12:13], v[2:3]
	s_waitcnt vmcnt(0) lgkmcnt(0)
	v_ashrrev_i32_e32 v15, 31, v14
	v_add_co_u32_e32 v16, vcc, v12, v14
	v_addc_co_u32_e32 v17, vcc, v13, v15, vcc
	flat_load_dwordx4 v[12:15], v[16:17] offset:2816
	flat_load_dword v20, v[4:5]
	s_waitcnt vmcnt(0) lgkmcnt(0)
	flat_store_dwordx4 v[4:5], v[12:15] offset:16
	flat_load_dword v21, v[6:7]
	flat_load_dwordx4 v[16:19], v[8:9]
	s_nop 0
	flat_load_dwordx4 v[12:15], v[8:9] offset:16
	s_waitcnt vmcnt(0) lgkmcnt(0)
	v_dot4c_i32_i8_e32 v16, v20, v21
	s_nop 2
	flat_store_dword v[8:9], v16
	flat_load_dword v16, v[4:5]
	s_nop 0
	flat_load_dword v20, v[6:7] offset:4
	s_waitcnt vmcnt(0) lgkmcnt(0)
	v_dot4c_i32_i8_e32 v17, v16, v20
	s_nop 2
	flat_store_dword v[8:9], v17 offset:4
	flat_load_dword v16, v[4:5]
	s_nop 0
	flat_load_dword v17, v[6:7] offset:8
	s_waitcnt vmcnt(0) lgkmcnt(0)
	v_dot4c_i32_i8_e32 v18, v16, v17
	s_nop 2
	flat_store_dword v[8:9], v18 offset:8
	flat_load_dword v16, v[4:5]
	flat_load_dword v17, v[6:7] offset:12
	s_waitcnt vmcnt(0) lgkmcnt(0)
	v_dot4c_i32_i8_e32 v19, v16, v17
	s_nop 2
	flat_store_dword v[8:9], v19 offset:12
	flat_load_dword v24, v[4:5] offset:4
	flat_load_dword v25, v[6:7]
	s_nop 0
	flat_load_dwordx4 v[16:19], v[8:9] offset:32
	flat_load_dwordx4 v[20:23], v[8:9] offset:48
	s_waitcnt vmcnt(0) lgkmcnt(0)
	v_dot4c_i32_i8_e32 v16, v24, v25
	s_nop 2
	flat_store_dword v[8:9], v16 offset:32
	flat_load_dword v16, v[4:5] offset:4
	s_nop 0
	flat_load_dword v24, v[6:7] offset:4
	s_waitcnt vmcnt(0) lgkmcnt(0)
	v_dot4c_i32_i8_e32 v17, v16, v24
	s_nop 2
	flat_store_dword v[8:9], v17 offset:36
	flat_load_dword v16, v[4:5] offset:4
	s_nop 0
	flat_load_dword v17, v[6:7] offset:8
	s_waitcnt vmcnt(0) lgkmcnt(0)
	v_dot4c_i32_i8_e32 v18, v16, v17
	s_nop 2
	flat_store_dword v[8:9], v18 offset:40
	flat_load_dword v16, v[4:5] offset:4
	flat_load_dword v17, v[6:7] offset:12
	s_waitcnt vmcnt(0) lgkmcnt(0)
	v_dot4c_i32_i8_e32 v19, v16, v17
	s_nop 2
	flat_store_dword v[8:9], v19 offset:44
	flat_load_dword v28, v[4:5] offset:8
	flat_load_dword v29, v[6:7]
	s_nop 0
	flat_load_dwordx4 v[16:19], v[8:9] offset:64
	flat_load_dwordx4 v[24:27], v[8:9] offset:80
	s_waitcnt vmcnt(0) lgkmcnt(0)
	v_dot4c_i32_i8_e32 v16, v28, v29
	s_nop 2
	flat_store_dword v[8:9], v16 offset:64
	flat_load_dword v16, v[4:5] offset:8
	s_nop 0
	flat_load_dword v28, v[6:7] offset:4
	s_waitcnt vmcnt(0) lgkmcnt(0)
	v_dot4c_i32_i8_e32 v17, v16, v28
	s_nop 2
	flat_store_dword v[8:9], v17 offset:68
	flat_load_dword v16, v[4:5] offset:8
	s_nop 0
	flat_load_dword v17, v[6:7] offset:8
	s_waitcnt vmcnt(0) lgkmcnt(0)
	v_dot4c_i32_i8_e32 v18, v16, v17
	s_nop 2
	flat_store_dword v[8:9], v18 offset:72
	flat_load_dword v16, v[4:5] offset:8
	flat_load_dword v17, v[6:7] offset:12
	s_waitcnt vmcnt(0) lgkmcnt(0)
	v_dot4c_i32_i8_e32 v19, v16, v17
	s_nop 2
	flat_store_dword v[8:9], v19 offset:76
	flat_load_dword v32, v[4:5] offset:12
	flat_load_dword v33, v[6:7]
	s_nop 0
	flat_load_dwordx4 v[16:19], v[8:9] offset:96
	flat_load_dwordx4 v[28:31], v[8:9] offset:112
	s_waitcnt vmcnt(0) lgkmcnt(0)
	v_dot4c_i32_i8_e32 v16, v32, v33
	s_nop 2
	flat_store_dword v[8:9], v16 offset:96
	flat_load_dword v16, v[4:5] offset:12
	s_nop 0
	flat_load_dword v32, v[6:7] offset:4
	s_waitcnt vmcnt(0) lgkmcnt(0)
	v_dot4c_i32_i8_e32 v17, v16, v32
	s_nop 2
	flat_store_dword v[8:9], v17 offset:100
	flat_load_dword v16, v[4:5] offset:12
	s_nop 0
	flat_load_dword v17, v[6:7] offset:8
	s_waitcnt vmcnt(0) lgkmcnt(0)
	v_dot4c_i32_i8_e32 v18, v16, v17
	s_nop 2
	flat_store_dword v[8:9], v18 offset:104
	flat_load_dword v16, v[4:5] offset:12
	flat_load_dword v17, v[6:7] offset:12
	s_waitcnt vmcnt(0) lgkmcnt(0)
	v_dot4c_i32_i8_e32 v19, v16, v17
	s_nop 2
	flat_store_dword v[8:9], v19 offset:108
	flat_load_dword v16, v[4:5]
	flat_load_dword v17, v[6:7] offset:16
	s_waitcnt vmcnt(0) lgkmcnt(0)
	v_dot4c_i32_i8_e32 v12, v16, v17
	s_nop 2
	flat_store_dword v[8:9], v12 offset:16
	flat_load_dword v12, v[4:5]
	s_nop 0
	flat_load_dword v16, v[6:7] offset:20
	s_waitcnt vmcnt(0) lgkmcnt(0)
	v_dot4c_i32_i8_e32 v13, v12, v16
	s_nop 2
	flat_store_dword v[8:9], v13 offset:20
	flat_load_dword v12, v[4:5]
	s_nop 0
	flat_load_dword v13, v[6:7] offset:24
	s_waitcnt vmcnt(0) lgkmcnt(0)
	v_dot4c_i32_i8_e32 v14, v12, v13
	s_nop 2
	flat_store_dword v[8:9], v14 offset:24
	flat_load_dword v12, v[4:5]
	flat_load_dword v13, v[6:7] offset:28
	s_waitcnt vmcnt(0) lgkmcnt(0)
	v_dot4c_i32_i8_e32 v15, v12, v13
	s_nop 2
	flat_store_dword v[8:9], v15 offset:28
	flat_load_dword v12, v[4:5] offset:4
	flat_load_dword v13, v[6:7] offset:16
	s_waitcnt vmcnt(0) lgkmcnt(0)
	v_dot4c_i32_i8_e32 v20, v12, v13
	s_nop 2
	flat_store_dword v[8:9], v20 offset:48
	flat_load_dword v12, v[4:5] offset:4
	;; [unrolled: 6-line block ×13, first 2 shown]
	flat_load_dwordx2 v[12:13], v[2:3]
	s_waitcnt vmcnt(0) lgkmcnt(0)
	v_ashrrev_i32_e32 v15, 31, v14
	v_add_co_u32_e32 v16, vcc, v12, v14
	v_addc_co_u32_e32 v17, vcc, v13, v15, vcc
	flat_load_dwordx4 v[12:15], v[16:17] offset:3072
	flat_load_dword v20, v[4:5] offset:16
	s_waitcnt vmcnt(0) lgkmcnt(0)
	flat_store_dwordx4 v[4:5], v[12:15]
	flat_load_dword v21, v[6:7]
	s_nop 0
	flat_load_dwordx4 v[12:15], v[8:9] offset:128
	flat_load_dwordx4 v[16:19], v[8:9] offset:160
	s_waitcnt vmcnt(0) lgkmcnt(0)
	v_dot4c_i32_i8_e32 v12, v20, v21
	s_nop 2
	flat_store_dword v[8:9], v12 offset:128
	flat_load_dword v12, v[4:5] offset:16
	s_nop 0
	flat_load_dword v20, v[6:7] offset:4
	s_waitcnt vmcnt(0) lgkmcnt(0)
	v_dot4c_i32_i8_e32 v13, v12, v20
	s_nop 2
	flat_store_dword v[8:9], v13 offset:132
	flat_load_dword v12, v[4:5] offset:16
	s_nop 0
	flat_load_dword v13, v[6:7] offset:8
	s_waitcnt vmcnt(0) lgkmcnt(0)
	v_dot4c_i32_i8_e32 v14, v12, v13
	s_nop 2
	flat_store_dword v[8:9], v14 offset:136
	flat_load_dword v12, v[4:5] offset:16
	flat_load_dword v13, v[6:7] offset:12
	s_waitcnt vmcnt(0) lgkmcnt(0)
	v_dot4c_i32_i8_e32 v15, v12, v13
	s_nop 2
	flat_store_dword v[8:9], v15 offset:140
	flat_load_dword v12, v[4:5] offset:20
	flat_load_dword v13, v[6:7]
	s_waitcnt vmcnt(0) lgkmcnt(0)
	v_dot4c_i32_i8_e32 v16, v12, v13
	s_nop 2
	flat_store_dword v[8:9], v16 offset:160
	flat_load_dword v12, v[4:5] offset:20
	flat_load_dword v13, v[6:7] offset:4
	s_waitcnt vmcnt(0) lgkmcnt(0)
	v_dot4c_i32_i8_e32 v17, v12, v13
	s_nop 2
	flat_store_dword v[8:9], v17 offset:164
	flat_load_dword v12, v[4:5] offset:20
	flat_load_dword v13, v[6:7] offset:8
	;; [unrolled: 6-line block ×3, first 2 shown]
	s_waitcnt vmcnt(0) lgkmcnt(0)
	v_dot4c_i32_i8_e32 v19, v12, v13
	s_nop 2
	flat_store_dword v[8:9], v19 offset:172
	flat_load_dword v20, v[4:5] offset:24
	flat_load_dword v21, v[6:7]
	flat_load_dwordx4 v[12:15], v[8:9] offset:192
	s_nop 0
	flat_load_dwordx4 v[16:19], v[8:9] offset:224
	s_waitcnt vmcnt(0) lgkmcnt(0)
	v_dot4c_i32_i8_e32 v12, v20, v21
	s_nop 2
	flat_store_dword v[8:9], v12 offset:192
	flat_load_dword v12, v[4:5] offset:24
	s_nop 0
	flat_load_dword v20, v[6:7] offset:4
	s_waitcnt vmcnt(0) lgkmcnt(0)
	v_dot4c_i32_i8_e32 v13, v12, v20
	s_nop 2
	flat_store_dword v[8:9], v13 offset:196
	flat_load_dword v12, v[4:5] offset:24
	s_nop 0
	flat_load_dword v13, v[6:7] offset:8
	s_waitcnt vmcnt(0) lgkmcnt(0)
	v_dot4c_i32_i8_e32 v14, v12, v13
	s_nop 2
	flat_store_dword v[8:9], v14 offset:200
	flat_load_dword v12, v[4:5] offset:24
	flat_load_dword v13, v[6:7] offset:12
	s_waitcnt vmcnt(0) lgkmcnt(0)
	v_dot4c_i32_i8_e32 v15, v12, v13
	s_nop 2
	flat_store_dword v[8:9], v15 offset:204
	flat_load_dword v12, v[4:5] offset:28
	flat_load_dword v13, v[6:7]
	s_waitcnt vmcnt(0) lgkmcnt(0)
	v_dot4c_i32_i8_e32 v16, v12, v13
	s_nop 2
	flat_store_dword v[8:9], v16 offset:224
	flat_load_dword v12, v[4:5] offset:28
	flat_load_dword v13, v[6:7] offset:4
	s_waitcnt vmcnt(0) lgkmcnt(0)
	v_dot4c_i32_i8_e32 v17, v12, v13
	s_nop 2
	flat_store_dword v[8:9], v17 offset:228
	flat_load_dword v12, v[4:5] offset:28
	flat_load_dword v13, v[6:7] offset:8
	;; [unrolled: 6-line block ×3, first 2 shown]
	s_waitcnt vmcnt(0) lgkmcnt(0)
	v_dot4c_i32_i8_e32 v19, v12, v13
	s_nop 2
	flat_store_dword v[8:9], v19 offset:236
	flat_load_dword v14, v[0:1] offset:48
	flat_load_dwordx2 v[12:13], v[10:11]
	s_waitcnt vmcnt(0) lgkmcnt(0)
	v_ashrrev_i32_e32 v15, 31, v14
	v_add_co_u32_e32 v16, vcc, v12, v14
	v_addc_co_u32_e32 v17, vcc, v13, v15, vcc
	flat_load_dwordx4 v[12:15], v[16:17] offset:3072
	flat_load_dword v20, v[6:7] offset:16
	s_waitcnt vmcnt(0) lgkmcnt(0)
	flat_store_dwordx4 v[6:7], v[12:15]
	flat_load_dword v21, v[4:5] offset:16
	s_nop 0
	flat_load_dwordx4 v[12:15], v[8:9] offset:144
	flat_load_dwordx4 v[16:19], v[8:9] offset:176
	s_waitcnt vmcnt(0) lgkmcnt(0)
	v_dot4c_i32_i8_e32 v12, v21, v20
	s_nop 2
	flat_store_dword v[8:9], v12 offset:144
	flat_load_dword v12, v[4:5] offset:16
	s_nop 0
	flat_load_dword v20, v[6:7] offset:20
	s_waitcnt vmcnt(0) lgkmcnt(0)
	v_dot4c_i32_i8_e32 v13, v12, v20
	s_nop 2
	flat_store_dword v[8:9], v13 offset:148
	flat_load_dword v12, v[4:5] offset:16
	s_nop 0
	flat_load_dword v13, v[6:7] offset:24
	s_waitcnt vmcnt(0) lgkmcnt(0)
	v_dot4c_i32_i8_e32 v14, v12, v13
	s_nop 2
	flat_store_dword v[8:9], v14 offset:152
	flat_load_dword v12, v[4:5] offset:16
	flat_load_dword v13, v[6:7] offset:28
	s_waitcnt vmcnt(0) lgkmcnt(0)
	v_dot4c_i32_i8_e32 v15, v12, v13
	s_nop 2
	flat_store_dword v[8:9], v15 offset:156
	flat_load_dword v12, v[4:5] offset:20
	;; [unrolled: 6-line block ×6, first 2 shown]
	flat_load_dword v21, v[6:7] offset:16
	flat_load_dwordx4 v[12:15], v[8:9] offset:208
	s_nop 0
	flat_load_dwordx4 v[16:19], v[8:9] offset:240
	s_waitcnt vmcnt(0) lgkmcnt(0)
	v_dot4c_i32_i8_e32 v12, v20, v21
	s_nop 2
	flat_store_dword v[8:9], v12 offset:208
	flat_load_dword v12, v[4:5] offset:24
	s_nop 0
	flat_load_dword v20, v[6:7] offset:20
	s_waitcnt vmcnt(0) lgkmcnt(0)
	v_dot4c_i32_i8_e32 v13, v12, v20
	s_nop 2
	flat_store_dword v[8:9], v13 offset:212
	flat_load_dword v12, v[4:5] offset:24
	s_nop 0
	flat_load_dword v13, v[6:7] offset:24
	s_waitcnt vmcnt(0) lgkmcnt(0)
	v_dot4c_i32_i8_e32 v14, v12, v13
	s_nop 2
	flat_store_dword v[8:9], v14 offset:216
	flat_load_dword v12, v[4:5] offset:24
	flat_load_dword v13, v[6:7] offset:28
	s_waitcnt vmcnt(0) lgkmcnt(0)
	v_dot4c_i32_i8_e32 v15, v12, v13
	s_nop 2
	flat_store_dword v[8:9], v15 offset:220
	flat_load_dword v12, v[4:5] offset:28
	flat_load_dword v13, v[6:7] offset:16
	s_waitcnt vmcnt(0) lgkmcnt(0)
	v_dot4c_i32_i8_e32 v16, v12, v13
	s_nop 2
	flat_store_dword v[8:9], v16 offset:240
	flat_load_dword v12, v[4:5] offset:28
	flat_load_dword v13, v[6:7] offset:20
	s_waitcnt vmcnt(0) lgkmcnt(0)
	v_dot4c_i32_i8_e32 v17, v12, v13
	s_nop 2
	flat_store_dword v[8:9], v17 offset:244
	flat_load_dword v12, v[4:5] offset:28
	flat_load_dword v13, v[6:7] offset:24
	s_waitcnt vmcnt(0) lgkmcnt(0)
	v_dot4c_i32_i8_e32 v18, v12, v13
	s_nop 2
	flat_store_dword v[8:9], v18 offset:248
	flat_load_dword v12, v[4:5] offset:28
	flat_load_dword v13, v[6:7] offset:28
	s_waitcnt vmcnt(0) lgkmcnt(0)
	v_dot4c_i32_i8_e32 v19, v12, v13
	s_nop 2
	flat_store_dword v[8:9], v19 offset:252
	flat_load_dword v14, v[0:1] offset:48
	flat_load_dwordx2 v[12:13], v[10:11]
	s_waitcnt vmcnt(0) lgkmcnt(0)
	v_ashrrev_i32_e32 v15, 31, v14
	v_add_co_u32_e32 v12, vcc, v12, v14
	v_addc_co_u32_e32 v13, vcc, v13, v15, vcc
	flat_load_dwordx4 v[12:15], v[12:13] offset:3328
	s_waitcnt vmcnt(0) lgkmcnt(0)
	flat_store_dwordx4 v[6:7], v[12:15] offset:16
	flat_load_dword v14, v[0:1] offset:16
	s_nop 0
	flat_load_dwordx2 v[12:13], v[2:3]
	s_waitcnt vmcnt(0) lgkmcnt(0)
	v_ashrrev_i32_e32 v15, 31, v14
	v_add_co_u32_e32 v16, vcc, v12, v14
	v_addc_co_u32_e32 v17, vcc, v13, v15, vcc
	flat_load_dwordx4 v[12:15], v[16:17] offset:3328
	flat_load_dword v20, v[4:5]
	s_waitcnt vmcnt(0) lgkmcnt(0)
	flat_store_dwordx4 v[4:5], v[12:15] offset:16
	flat_load_dword v21, v[6:7]
	flat_load_dwordx4 v[16:19], v[8:9]
	s_nop 0
	flat_load_dwordx4 v[12:15], v[8:9] offset:16
	s_waitcnt vmcnt(0) lgkmcnt(0)
	v_dot4c_i32_i8_e32 v16, v20, v21
	s_nop 2
	flat_store_dword v[8:9], v16
	flat_load_dword v16, v[4:5]
	s_nop 0
	flat_load_dword v20, v[6:7] offset:4
	s_waitcnt vmcnt(0) lgkmcnt(0)
	v_dot4c_i32_i8_e32 v17, v16, v20
	s_nop 2
	flat_store_dword v[8:9], v17 offset:4
	flat_load_dword v16, v[4:5]
	s_nop 0
	flat_load_dword v17, v[6:7] offset:8
	s_waitcnt vmcnt(0) lgkmcnt(0)
	v_dot4c_i32_i8_e32 v18, v16, v17
	s_nop 2
	flat_store_dword v[8:9], v18 offset:8
	flat_load_dword v16, v[4:5]
	flat_load_dword v17, v[6:7] offset:12
	s_waitcnt vmcnt(0) lgkmcnt(0)
	v_dot4c_i32_i8_e32 v19, v16, v17
	s_nop 2
	flat_store_dword v[8:9], v19 offset:12
	flat_load_dword v24, v[4:5] offset:4
	flat_load_dword v25, v[6:7]
	s_nop 0
	flat_load_dwordx4 v[16:19], v[8:9] offset:32
	flat_load_dwordx4 v[20:23], v[8:9] offset:48
	s_waitcnt vmcnt(0) lgkmcnt(0)
	v_dot4c_i32_i8_e32 v16, v24, v25
	s_nop 2
	flat_store_dword v[8:9], v16 offset:32
	flat_load_dword v16, v[4:5] offset:4
	s_nop 0
	flat_load_dword v24, v[6:7] offset:4
	s_waitcnt vmcnt(0) lgkmcnt(0)
	v_dot4c_i32_i8_e32 v17, v16, v24
	s_nop 2
	flat_store_dword v[8:9], v17 offset:36
	flat_load_dword v16, v[4:5] offset:4
	s_nop 0
	flat_load_dword v17, v[6:7] offset:8
	s_waitcnt vmcnt(0) lgkmcnt(0)
	v_dot4c_i32_i8_e32 v18, v16, v17
	s_nop 2
	flat_store_dword v[8:9], v18 offset:40
	flat_load_dword v16, v[4:5] offset:4
	flat_load_dword v17, v[6:7] offset:12
	s_waitcnt vmcnt(0) lgkmcnt(0)
	v_dot4c_i32_i8_e32 v19, v16, v17
	s_nop 2
	flat_store_dword v[8:9], v19 offset:44
	flat_load_dword v28, v[4:5] offset:8
	flat_load_dword v29, v[6:7]
	s_nop 0
	flat_load_dwordx4 v[16:19], v[8:9] offset:64
	flat_load_dwordx4 v[24:27], v[8:9] offset:80
	s_waitcnt vmcnt(0) lgkmcnt(0)
	v_dot4c_i32_i8_e32 v16, v28, v29
	s_nop 2
	flat_store_dword v[8:9], v16 offset:64
	flat_load_dword v16, v[4:5] offset:8
	s_nop 0
	flat_load_dword v28, v[6:7] offset:4
	s_waitcnt vmcnt(0) lgkmcnt(0)
	v_dot4c_i32_i8_e32 v17, v16, v28
	s_nop 2
	flat_store_dword v[8:9], v17 offset:68
	flat_load_dword v16, v[4:5] offset:8
	s_nop 0
	flat_load_dword v17, v[6:7] offset:8
	s_waitcnt vmcnt(0) lgkmcnt(0)
	v_dot4c_i32_i8_e32 v18, v16, v17
	s_nop 2
	flat_store_dword v[8:9], v18 offset:72
	flat_load_dword v16, v[4:5] offset:8
	;; [unrolled: 29-line block ×3, first 2 shown]
	flat_load_dword v17, v[6:7] offset:12
	s_waitcnt vmcnt(0) lgkmcnt(0)
	v_dot4c_i32_i8_e32 v19, v16, v17
	s_nop 2
	flat_store_dword v[8:9], v19 offset:108
	flat_load_dword v16, v[4:5]
	flat_load_dword v17, v[6:7] offset:16
	s_waitcnt vmcnt(0) lgkmcnt(0)
	v_dot4c_i32_i8_e32 v12, v16, v17
	s_nop 2
	flat_store_dword v[8:9], v12 offset:16
	flat_load_dword v12, v[4:5]
	s_nop 0
	flat_load_dword v16, v[6:7] offset:20
	s_waitcnt vmcnt(0) lgkmcnt(0)
	v_dot4c_i32_i8_e32 v13, v12, v16
	s_nop 2
	flat_store_dword v[8:9], v13 offset:20
	flat_load_dword v12, v[4:5]
	s_nop 0
	flat_load_dword v13, v[6:7] offset:24
	s_waitcnt vmcnt(0) lgkmcnt(0)
	v_dot4c_i32_i8_e32 v14, v12, v13
	s_nop 2
	flat_store_dword v[8:9], v14 offset:24
	flat_load_dword v12, v[4:5]
	flat_load_dword v13, v[6:7] offset:28
	s_waitcnt vmcnt(0) lgkmcnt(0)
	v_dot4c_i32_i8_e32 v15, v12, v13
	s_nop 2
	flat_store_dword v[8:9], v15 offset:28
	flat_load_dword v12, v[4:5] offset:4
	flat_load_dword v13, v[6:7] offset:16
	s_waitcnt vmcnt(0) lgkmcnt(0)
	v_dot4c_i32_i8_e32 v20, v12, v13
	s_nop 2
	flat_store_dword v[8:9], v20 offset:48
	flat_load_dword v12, v[4:5] offset:4
	flat_load_dword v13, v[6:7] offset:20
	s_waitcnt vmcnt(0) lgkmcnt(0)
	v_dot4c_i32_i8_e32 v21, v12, v13
	s_nop 2
	flat_store_dword v[8:9], v21 offset:52
	flat_load_dword v12, v[4:5] offset:4
	flat_load_dword v13, v[6:7] offset:24
	s_waitcnt vmcnt(0) lgkmcnt(0)
	v_dot4c_i32_i8_e32 v22, v12, v13
	s_nop 2
	flat_store_dword v[8:9], v22 offset:56
	flat_load_dword v12, v[4:5] offset:4
	flat_load_dword v13, v[6:7] offset:28
	s_waitcnt vmcnt(0) lgkmcnt(0)
	v_dot4c_i32_i8_e32 v23, v12, v13
	s_nop 2
	flat_store_dword v[8:9], v23 offset:60
	flat_load_dword v12, v[4:5] offset:8
	flat_load_dword v13, v[6:7] offset:16
	s_waitcnt vmcnt(0) lgkmcnt(0)
	v_dot4c_i32_i8_e32 v24, v12, v13
	s_nop 2
	flat_store_dword v[8:9], v24 offset:80
	flat_load_dword v12, v[4:5] offset:8
	flat_load_dword v13, v[6:7] offset:20
	s_waitcnt vmcnt(0) lgkmcnt(0)
	v_dot4c_i32_i8_e32 v25, v12, v13
	s_nop 2
	flat_store_dword v[8:9], v25 offset:84
	flat_load_dword v12, v[4:5] offset:8
	flat_load_dword v13, v[6:7] offset:24
	s_waitcnt vmcnt(0) lgkmcnt(0)
	v_dot4c_i32_i8_e32 v26, v12, v13
	s_nop 2
	flat_store_dword v[8:9], v26 offset:88
	flat_load_dword v12, v[4:5] offset:8
	flat_load_dword v13, v[6:7] offset:28
	s_waitcnt vmcnt(0) lgkmcnt(0)
	v_dot4c_i32_i8_e32 v27, v12, v13
	s_nop 2
	flat_store_dword v[8:9], v27 offset:92
	flat_load_dword v12, v[4:5] offset:12
	flat_load_dword v13, v[6:7] offset:16
	s_waitcnt vmcnt(0) lgkmcnt(0)
	v_dot4c_i32_i8_e32 v28, v12, v13
	s_nop 2
	flat_store_dword v[8:9], v28 offset:112
	flat_load_dword v12, v[4:5] offset:12
	flat_load_dword v13, v[6:7] offset:20
	s_waitcnt vmcnt(0) lgkmcnt(0)
	v_dot4c_i32_i8_e32 v29, v12, v13
	s_nop 2
	flat_store_dword v[8:9], v29 offset:116
	flat_load_dword v12, v[4:5] offset:12
	flat_load_dword v13, v[6:7] offset:24
	s_waitcnt vmcnt(0) lgkmcnt(0)
	v_dot4c_i32_i8_e32 v30, v12, v13
	s_nop 2
	flat_store_dword v[8:9], v30 offset:120
	flat_load_dword v12, v[4:5] offset:12
	flat_load_dword v13, v[6:7] offset:28
	s_waitcnt vmcnt(0) lgkmcnt(0)
	v_dot4c_i32_i8_e32 v31, v12, v13
	s_nop 2
	flat_store_dword v[8:9], v31 offset:124
	flat_load_dword v14, v[0:1] offset:16
	flat_load_dwordx2 v[12:13], v[2:3]
	s_waitcnt vmcnt(0) lgkmcnt(0)
	v_ashrrev_i32_e32 v15, 31, v14
	v_add_co_u32_e32 v16, vcc, v12, v14
	v_addc_co_u32_e32 v17, vcc, v13, v15, vcc
	flat_load_dwordx4 v[12:15], v[16:17] offset:3584
	flat_load_dword v18, v[4:5] offset:16
	s_waitcnt vmcnt(0) lgkmcnt(0)
	flat_store_dwordx4 v[4:5], v[12:15]
	flat_load_dword v16, v[6:7]
	s_nop 0
	flat_load_dwordx4 v[12:15], v[8:9] offset:128
	s_waitcnt vmcnt(0) lgkmcnt(0)
	v_dot4c_i32_i8_e32 v12, v18, v16
	s_nop 2
	flat_store_dword v[8:9], v12 offset:128
	flat_load_dword v12, v[4:5] offset:16
	s_nop 0
	flat_load_dword v16, v[6:7] offset:4
	s_waitcnt vmcnt(0) lgkmcnt(0)
	v_dot4c_i32_i8_e32 v13, v12, v16
	s_nop 2
	flat_store_dword v[8:9], v13 offset:132
	flat_load_dword v12, v[4:5] offset:16
	s_nop 0
	flat_load_dword v13, v[6:7] offset:8
	s_waitcnt vmcnt(0) lgkmcnt(0)
	v_dot4c_i32_i8_e32 v14, v12, v13
	s_nop 2
	flat_store_dword v[8:9], v14 offset:136
	flat_load_dword v12, v[4:5] offset:16
	flat_load_dword v13, v[6:7] offset:12
	s_waitcnt vmcnt(0) lgkmcnt(0)
	v_dot4c_i32_i8_e32 v15, v12, v13
	s_nop 2
	flat_store_dword v[8:9], v15 offset:140
	flat_load_dword v16, v[4:5] offset:20
	flat_load_dword v17, v[6:7]
	s_nop 0
	flat_load_dwordx4 v[12:15], v[8:9] offset:160
	s_waitcnt vmcnt(0) lgkmcnt(0)
	v_dot4c_i32_i8_e32 v12, v16, v17
	s_nop 2
	flat_store_dword v[8:9], v12 offset:160
	flat_load_dword v12, v[4:5] offset:20
	s_nop 0
	flat_load_dword v16, v[6:7] offset:4
	s_waitcnt vmcnt(0) lgkmcnt(0)
	v_dot4c_i32_i8_e32 v13, v12, v16
	s_nop 2
	flat_store_dword v[8:9], v13 offset:164
	flat_load_dword v12, v[4:5] offset:20
	s_nop 0
	flat_load_dword v13, v[6:7] offset:8
	s_waitcnt vmcnt(0) lgkmcnt(0)
	v_dot4c_i32_i8_e32 v14, v12, v13
	s_nop 2
	flat_store_dword v[8:9], v14 offset:168
	flat_load_dword v12, v[4:5] offset:20
	flat_load_dword v13, v[6:7] offset:12
	s_waitcnt vmcnt(0) lgkmcnt(0)
	v_dot4c_i32_i8_e32 v15, v12, v13
	s_nop 2
	flat_store_dword v[8:9], v15 offset:172
	flat_load_dword v20, v[4:5] offset:24
	flat_load_dword v21, v[6:7]
	s_nop 0
	flat_load_dwordx4 v[12:15], v[8:9] offset:192
	flat_load_dwordx4 v[16:19], v[8:9] offset:224
	s_waitcnt vmcnt(0) lgkmcnt(0)
	v_dot4c_i32_i8_e32 v12, v20, v21
	s_nop 2
	flat_store_dword v[8:9], v12 offset:192
	flat_load_dword v12, v[4:5] offset:24
	s_nop 0
	flat_load_dword v20, v[6:7] offset:4
	s_waitcnt vmcnt(0) lgkmcnt(0)
	v_dot4c_i32_i8_e32 v13, v12, v20
	s_nop 2
	flat_store_dword v[8:9], v13 offset:196
	flat_load_dword v12, v[4:5] offset:24
	s_nop 0
	flat_load_dword v13, v[6:7] offset:8
	s_waitcnt vmcnt(0) lgkmcnt(0)
	v_dot4c_i32_i8_e32 v14, v12, v13
	s_nop 2
	flat_store_dword v[8:9], v14 offset:200
	flat_load_dword v12, v[4:5] offset:24
	flat_load_dword v13, v[6:7] offset:12
	s_waitcnt vmcnt(0) lgkmcnt(0)
	v_dot4c_i32_i8_e32 v15, v12, v13
	s_nop 2
	flat_store_dword v[8:9], v15 offset:204
	flat_load_dword v12, v[4:5] offset:28
	flat_load_dword v13, v[6:7]
	s_waitcnt vmcnt(0) lgkmcnt(0)
	v_dot4c_i32_i8_e32 v16, v12, v13
	s_nop 2
	flat_store_dword v[8:9], v16 offset:224
	flat_load_dword v12, v[4:5] offset:28
	flat_load_dword v13, v[6:7] offset:4
	s_waitcnt vmcnt(0) lgkmcnt(0)
	v_dot4c_i32_i8_e32 v17, v12, v13
	s_nop 2
	flat_store_dword v[8:9], v17 offset:228
	flat_load_dword v12, v[4:5] offset:28
	flat_load_dword v13, v[6:7] offset:8
	;; [unrolled: 6-line block ×3, first 2 shown]
	s_waitcnt vmcnt(0) lgkmcnt(0)
	v_dot4c_i32_i8_e32 v19, v12, v13
	s_nop 2
	flat_store_dword v[8:9], v19 offset:236
	flat_load_dword v14, v[0:1] offset:48
	flat_load_dwordx2 v[12:13], v[10:11]
	s_waitcnt vmcnt(0) lgkmcnt(0)
	v_ashrrev_i32_e32 v15, 31, v14
	v_add_co_u32_e32 v16, vcc, v12, v14
	v_addc_co_u32_e32 v17, vcc, v13, v15, vcc
	flat_load_dwordx4 v[12:15], v[16:17] offset:3584
	flat_load_dword v20, v[6:7] offset:16
	s_waitcnt vmcnt(0) lgkmcnt(0)
	flat_store_dwordx4 v[6:7], v[12:15]
	flat_load_dword v21, v[4:5] offset:16
	s_nop 0
	flat_load_dwordx4 v[12:15], v[8:9] offset:144
	flat_load_dwordx4 v[16:19], v[8:9] offset:176
	s_waitcnt vmcnt(0) lgkmcnt(0)
	v_dot4c_i32_i8_e32 v12, v21, v20
	s_nop 2
	flat_store_dword v[8:9], v12 offset:144
	flat_load_dword v12, v[4:5] offset:16
	s_nop 0
	flat_load_dword v20, v[6:7] offset:20
	s_waitcnt vmcnt(0) lgkmcnt(0)
	v_dot4c_i32_i8_e32 v13, v12, v20
	s_nop 2
	flat_store_dword v[8:9], v13 offset:148
	flat_load_dword v12, v[4:5] offset:16
	s_nop 0
	flat_load_dword v13, v[6:7] offset:24
	s_waitcnt vmcnt(0) lgkmcnt(0)
	v_dot4c_i32_i8_e32 v14, v12, v13
	s_nop 2
	flat_store_dword v[8:9], v14 offset:152
	flat_load_dword v12, v[4:5] offset:16
	flat_load_dword v13, v[6:7] offset:28
	s_waitcnt vmcnt(0) lgkmcnt(0)
	v_dot4c_i32_i8_e32 v15, v12, v13
	s_nop 2
	flat_store_dword v[8:9], v15 offset:156
	flat_load_dword v12, v[4:5] offset:20
	;; [unrolled: 6-line block ×6, first 2 shown]
	flat_load_dword v21, v[6:7] offset:16
	flat_load_dwordx4 v[12:15], v[8:9] offset:208
	s_nop 0
	flat_load_dwordx4 v[16:19], v[8:9] offset:240
	s_waitcnt vmcnt(0) lgkmcnt(0)
	v_dot4c_i32_i8_e32 v12, v20, v21
	s_nop 2
	flat_store_dword v[8:9], v12 offset:208
	flat_load_dword v12, v[4:5] offset:24
	s_nop 0
	flat_load_dword v20, v[6:7] offset:20
	s_waitcnt vmcnt(0) lgkmcnt(0)
	v_dot4c_i32_i8_e32 v13, v12, v20
	s_nop 2
	flat_store_dword v[8:9], v13 offset:212
	flat_load_dword v12, v[4:5] offset:24
	s_nop 0
	flat_load_dword v13, v[6:7] offset:24
	s_waitcnt vmcnt(0) lgkmcnt(0)
	v_dot4c_i32_i8_e32 v14, v12, v13
	s_nop 2
	flat_store_dword v[8:9], v14 offset:216
	flat_load_dword v12, v[4:5] offset:24
	flat_load_dword v13, v[6:7] offset:28
	s_waitcnt vmcnt(0) lgkmcnt(0)
	v_dot4c_i32_i8_e32 v15, v12, v13
	s_nop 2
	flat_store_dword v[8:9], v15 offset:220
	flat_load_dword v12, v[4:5] offset:28
	flat_load_dword v13, v[6:7] offset:16
	s_waitcnt vmcnt(0) lgkmcnt(0)
	v_dot4c_i32_i8_e32 v16, v12, v13
	s_nop 2
	flat_store_dword v[8:9], v16 offset:240
	flat_load_dword v12, v[4:5] offset:28
	flat_load_dword v13, v[6:7] offset:20
	s_waitcnt vmcnt(0) lgkmcnt(0)
	v_dot4c_i32_i8_e32 v17, v12, v13
	s_nop 2
	flat_store_dword v[8:9], v17 offset:244
	flat_load_dword v12, v[4:5] offset:28
	flat_load_dword v13, v[6:7] offset:24
	s_waitcnt vmcnt(0) lgkmcnt(0)
	v_dot4c_i32_i8_e32 v18, v12, v13
	s_nop 2
	flat_store_dword v[8:9], v18 offset:248
	flat_load_dword v12, v[4:5] offset:28
	flat_load_dword v13, v[6:7] offset:28
	s_waitcnt vmcnt(0) lgkmcnt(0)
	v_dot4c_i32_i8_e32 v19, v12, v13
	s_nop 2
	flat_store_dword v[8:9], v19 offset:252
	flat_load_dword v14, v[0:1] offset:48
	flat_load_dwordx2 v[12:13], v[10:11]
	s_waitcnt vmcnt(0) lgkmcnt(0)
	v_ashrrev_i32_e32 v15, 31, v14
	v_add_co_u32_e32 v12, vcc, v12, v14
	v_addc_co_u32_e32 v13, vcc, v13, v15, vcc
	flat_load_dwordx4 v[12:15], v[12:13] offset:3840
	s_waitcnt vmcnt(0) lgkmcnt(0)
	flat_store_dwordx4 v[6:7], v[12:15] offset:16
	flat_load_dword v14, v[0:1] offset:16
	s_nop 0
	flat_load_dwordx2 v[12:13], v[2:3]
	s_waitcnt vmcnt(0) lgkmcnt(0)
	v_ashrrev_i32_e32 v15, 31, v14
	v_add_co_u32_e32 v16, vcc, v12, v14
	v_addc_co_u32_e32 v17, vcc, v13, v15, vcc
	flat_load_dwordx4 v[12:15], v[16:17] offset:3840
	flat_load_dword v20, v[4:5]
	s_waitcnt vmcnt(0) lgkmcnt(0)
	flat_store_dwordx4 v[4:5], v[12:15] offset:16
	flat_load_dword v21, v[6:7]
	flat_load_dwordx4 v[16:19], v[8:9]
	s_nop 0
	flat_load_dwordx4 v[12:15], v[8:9] offset:16
	s_waitcnt vmcnt(0) lgkmcnt(0)
	v_dot4c_i32_i8_e32 v16, v20, v21
	s_nop 2
	flat_store_dword v[8:9], v16
	flat_load_dword v16, v[4:5]
	s_nop 0
	flat_load_dword v20, v[6:7] offset:4
	s_waitcnt vmcnt(0) lgkmcnt(0)
	v_dot4c_i32_i8_e32 v17, v16, v20
	s_nop 2
	flat_store_dword v[8:9], v17 offset:4
	flat_load_dword v16, v[4:5]
	s_nop 0
	flat_load_dword v17, v[6:7] offset:8
	s_waitcnt vmcnt(0) lgkmcnt(0)
	v_dot4c_i32_i8_e32 v18, v16, v17
	s_nop 2
	flat_store_dword v[8:9], v18 offset:8
	flat_load_dword v16, v[4:5]
	flat_load_dword v17, v[6:7] offset:12
	s_waitcnt vmcnt(0) lgkmcnt(0)
	v_dot4c_i32_i8_e32 v19, v16, v17
	s_nop 2
	flat_store_dword v[8:9], v19 offset:12
	flat_load_dword v24, v[4:5] offset:4
	flat_load_dword v25, v[6:7]
	s_nop 0
	flat_load_dwordx4 v[16:19], v[8:9] offset:32
	flat_load_dwordx4 v[20:23], v[8:9] offset:48
	s_waitcnt vmcnt(0) lgkmcnt(0)
	v_dot4c_i32_i8_e32 v16, v24, v25
	s_nop 2
	flat_store_dword v[8:9], v16 offset:32
	flat_load_dword v16, v[4:5] offset:4
	s_nop 0
	flat_load_dword v24, v[6:7] offset:4
	s_waitcnt vmcnt(0) lgkmcnt(0)
	v_dot4c_i32_i8_e32 v17, v16, v24
	s_nop 2
	flat_store_dword v[8:9], v17 offset:36
	flat_load_dword v16, v[4:5] offset:4
	s_nop 0
	flat_load_dword v17, v[6:7] offset:8
	s_waitcnt vmcnt(0) lgkmcnt(0)
	v_dot4c_i32_i8_e32 v18, v16, v17
	s_nop 2
	flat_store_dword v[8:9], v18 offset:40
	flat_load_dword v16, v[4:5] offset:4
	flat_load_dword v17, v[6:7] offset:12
	s_waitcnt vmcnt(0) lgkmcnt(0)
	v_dot4c_i32_i8_e32 v19, v16, v17
	s_nop 2
	flat_store_dword v[8:9], v19 offset:44
	flat_load_dword v28, v[4:5] offset:8
	flat_load_dword v29, v[6:7]
	s_nop 0
	flat_load_dwordx4 v[16:19], v[8:9] offset:64
	flat_load_dwordx4 v[24:27], v[8:9] offset:80
	s_waitcnt vmcnt(0) lgkmcnt(0)
	v_dot4c_i32_i8_e32 v16, v28, v29
	s_nop 2
	flat_store_dword v[8:9], v16 offset:64
	flat_load_dword v16, v[4:5] offset:8
	s_nop 0
	flat_load_dword v28, v[6:7] offset:4
	s_waitcnt vmcnt(0) lgkmcnt(0)
	v_dot4c_i32_i8_e32 v17, v16, v28
	s_nop 2
	flat_store_dword v[8:9], v17 offset:68
	flat_load_dword v16, v[4:5] offset:8
	s_nop 0
	flat_load_dword v17, v[6:7] offset:8
	s_waitcnt vmcnt(0) lgkmcnt(0)
	v_dot4c_i32_i8_e32 v18, v16, v17
	s_nop 2
	flat_store_dword v[8:9], v18 offset:72
	flat_load_dword v16, v[4:5] offset:8
	;; [unrolled: 29-line block ×3, first 2 shown]
	flat_load_dword v17, v[6:7] offset:12
	s_waitcnt vmcnt(0) lgkmcnt(0)
	v_dot4c_i32_i8_e32 v19, v16, v17
	s_nop 2
	flat_store_dword v[8:9], v19 offset:108
	flat_load_dword v16, v[4:5]
	flat_load_dword v17, v[6:7] offset:16
	s_waitcnt vmcnt(0) lgkmcnt(0)
	v_dot4c_i32_i8_e32 v12, v16, v17
	s_nop 2
	flat_store_dword v[8:9], v12 offset:16
	flat_load_dword v12, v[4:5]
	s_nop 0
	flat_load_dword v16, v[6:7] offset:20
	s_waitcnt vmcnt(0) lgkmcnt(0)
	v_dot4c_i32_i8_e32 v13, v12, v16
	s_nop 2
	flat_store_dword v[8:9], v13 offset:20
	flat_load_dword v12, v[4:5]
	s_nop 0
	flat_load_dword v13, v[6:7] offset:24
	s_waitcnt vmcnt(0) lgkmcnt(0)
	v_dot4c_i32_i8_e32 v14, v12, v13
	s_nop 2
	flat_store_dword v[8:9], v14 offset:24
	flat_load_dword v12, v[4:5]
	flat_load_dword v13, v[6:7] offset:28
	s_waitcnt vmcnt(0) lgkmcnt(0)
	v_dot4c_i32_i8_e32 v15, v12, v13
	s_nop 2
	flat_store_dword v[8:9], v15 offset:28
	flat_load_dword v12, v[4:5] offset:4
	flat_load_dword v13, v[6:7] offset:16
	s_waitcnt vmcnt(0) lgkmcnt(0)
	v_dot4c_i32_i8_e32 v20, v12, v13
	s_nop 2
	flat_store_dword v[8:9], v20 offset:48
	flat_load_dword v12, v[4:5] offset:4
	;; [unrolled: 6-line block ×13, first 2 shown]
	flat_load_dwordx2 v[12:13], v[2:3]
	s_waitcnt vmcnt(0) lgkmcnt(0)
	v_ashrrev_i32_e32 v15, 31, v14
	v_add_co_u32_e32 v12, vcc, v12, v14
	v_addc_co_u32_e32 v13, vcc, v13, v15, vcc
	v_add_co_u32_e32 v16, vcc, s4, v12
	v_addc_co_u32_e32 v17, vcc, 0, v13, vcc
	flat_load_dwordx4 v[12:15], v[16:17]
	flat_load_dword v20, v[4:5] offset:16
	s_waitcnt vmcnt(0) lgkmcnt(0)
	flat_store_dwordx4 v[4:5], v[12:15]
	flat_load_dword v21, v[6:7]
	s_nop 0
	flat_load_dwordx4 v[12:15], v[8:9] offset:128
	flat_load_dwordx4 v[16:19], v[8:9] offset:160
	s_waitcnt vmcnt(0) lgkmcnt(0)
	v_dot4c_i32_i8_e32 v12, v20, v21
	s_nop 2
	flat_store_dword v[8:9], v12 offset:128
	flat_load_dword v12, v[4:5] offset:16
	s_nop 0
	flat_load_dword v20, v[6:7] offset:4
	s_waitcnt vmcnt(0) lgkmcnt(0)
	v_dot4c_i32_i8_e32 v13, v12, v20
	s_nop 2
	flat_store_dword v[8:9], v13 offset:132
	flat_load_dword v12, v[4:5] offset:16
	s_nop 0
	flat_load_dword v13, v[6:7] offset:8
	s_waitcnt vmcnt(0) lgkmcnt(0)
	v_dot4c_i32_i8_e32 v14, v12, v13
	s_nop 2
	flat_store_dword v[8:9], v14 offset:136
	flat_load_dword v12, v[4:5] offset:16
	flat_load_dword v13, v[6:7] offset:12
	s_waitcnt vmcnt(0) lgkmcnt(0)
	v_dot4c_i32_i8_e32 v15, v12, v13
	s_nop 2
	flat_store_dword v[8:9], v15 offset:140
	flat_load_dword v12, v[4:5] offset:20
	flat_load_dword v13, v[6:7]
	s_waitcnt vmcnt(0) lgkmcnt(0)
	v_dot4c_i32_i8_e32 v16, v12, v13
	s_nop 2
	flat_store_dword v[8:9], v16 offset:160
	flat_load_dword v12, v[4:5] offset:20
	flat_load_dword v13, v[6:7] offset:4
	s_waitcnt vmcnt(0) lgkmcnt(0)
	v_dot4c_i32_i8_e32 v17, v12, v13
	s_nop 2
	flat_store_dword v[8:9], v17 offset:164
	flat_load_dword v12, v[4:5] offset:20
	flat_load_dword v13, v[6:7] offset:8
	;; [unrolled: 6-line block ×3, first 2 shown]
	s_waitcnt vmcnt(0) lgkmcnt(0)
	v_dot4c_i32_i8_e32 v19, v12, v13
	s_nop 2
	flat_store_dword v[8:9], v19 offset:172
	flat_load_dword v20, v[4:5] offset:24
	flat_load_dword v21, v[6:7]
	flat_load_dwordx4 v[12:15], v[8:9] offset:192
	s_nop 0
	flat_load_dwordx4 v[16:19], v[8:9] offset:224
	s_waitcnt vmcnt(0) lgkmcnt(0)
	v_dot4c_i32_i8_e32 v12, v20, v21
	s_nop 2
	flat_store_dword v[8:9], v12 offset:192
	flat_load_dword v12, v[4:5] offset:24
	s_nop 0
	flat_load_dword v20, v[6:7] offset:4
	s_waitcnt vmcnt(0) lgkmcnt(0)
	v_dot4c_i32_i8_e32 v13, v12, v20
	s_nop 2
	flat_store_dword v[8:9], v13 offset:196
	flat_load_dword v12, v[4:5] offset:24
	s_nop 0
	flat_load_dword v13, v[6:7] offset:8
	s_waitcnt vmcnt(0) lgkmcnt(0)
	v_dot4c_i32_i8_e32 v14, v12, v13
	s_nop 2
	flat_store_dword v[8:9], v14 offset:200
	flat_load_dword v12, v[4:5] offset:24
	flat_load_dword v13, v[6:7] offset:12
	s_waitcnt vmcnt(0) lgkmcnt(0)
	v_dot4c_i32_i8_e32 v15, v12, v13
	s_nop 2
	flat_store_dword v[8:9], v15 offset:204
	flat_load_dword v12, v[4:5] offset:28
	flat_load_dword v13, v[6:7]
	s_waitcnt vmcnt(0) lgkmcnt(0)
	v_dot4c_i32_i8_e32 v16, v12, v13
	s_nop 2
	flat_store_dword v[8:9], v16 offset:224
	flat_load_dword v12, v[4:5] offset:28
	flat_load_dword v13, v[6:7] offset:4
	s_waitcnt vmcnt(0) lgkmcnt(0)
	v_dot4c_i32_i8_e32 v17, v12, v13
	s_nop 2
	flat_store_dword v[8:9], v17 offset:228
	flat_load_dword v12, v[4:5] offset:28
	flat_load_dword v13, v[6:7] offset:8
	;; [unrolled: 6-line block ×3, first 2 shown]
	s_waitcnt vmcnt(0) lgkmcnt(0)
	v_dot4c_i32_i8_e32 v19, v12, v13
	s_nop 2
	flat_store_dword v[8:9], v19 offset:236
	flat_load_dword v14, v[0:1] offset:48
	flat_load_dwordx2 v[12:13], v[10:11]
	s_waitcnt vmcnt(0) lgkmcnt(0)
	v_ashrrev_i32_e32 v15, 31, v14
	v_add_co_u32_e32 v12, vcc, v12, v14
	v_addc_co_u32_e32 v13, vcc, v13, v15, vcc
	v_add_co_u32_e32 v16, vcc, s4, v12
	v_addc_co_u32_e32 v17, vcc, 0, v13, vcc
	flat_load_dwordx4 v[12:15], v[16:17]
	flat_load_dword v20, v[6:7] offset:16
	s_waitcnt vmcnt(0) lgkmcnt(0)
	flat_store_dwordx4 v[6:7], v[12:15]
	flat_load_dword v21, v[4:5] offset:16
	s_nop 0
	flat_load_dwordx4 v[12:15], v[8:9] offset:144
	flat_load_dwordx4 v[16:19], v[8:9] offset:176
	s_waitcnt vmcnt(0) lgkmcnt(0)
	v_dot4c_i32_i8_e32 v12, v21, v20
	s_nop 2
	flat_store_dword v[8:9], v12 offset:144
	flat_load_dword v12, v[4:5] offset:16
	s_nop 0
	flat_load_dword v20, v[6:7] offset:20
	s_waitcnt vmcnt(0) lgkmcnt(0)
	v_dot4c_i32_i8_e32 v13, v12, v20
	s_nop 2
	flat_store_dword v[8:9], v13 offset:148
	flat_load_dword v12, v[4:5] offset:16
	s_nop 0
	flat_load_dword v13, v[6:7] offset:24
	s_waitcnt vmcnt(0) lgkmcnt(0)
	v_dot4c_i32_i8_e32 v14, v12, v13
	s_nop 2
	flat_store_dword v[8:9], v14 offset:152
	flat_load_dword v12, v[4:5] offset:16
	flat_load_dword v13, v[6:7] offset:28
	s_waitcnt vmcnt(0) lgkmcnt(0)
	v_dot4c_i32_i8_e32 v15, v12, v13
	s_nop 2
	flat_store_dword v[8:9], v15 offset:156
	flat_load_dword v12, v[4:5] offset:20
	;; [unrolled: 6-line block ×6, first 2 shown]
	flat_load_dword v21, v[6:7] offset:16
	flat_load_dwordx4 v[12:15], v[8:9] offset:208
	s_nop 0
	flat_load_dwordx4 v[16:19], v[8:9] offset:240
	s_waitcnt vmcnt(0) lgkmcnt(0)
	v_dot4c_i32_i8_e32 v12, v20, v21
	s_nop 2
	flat_store_dword v[8:9], v12 offset:208
	flat_load_dword v12, v[4:5] offset:24
	s_nop 0
	flat_load_dword v20, v[6:7] offset:20
	s_waitcnt vmcnt(0) lgkmcnt(0)
	v_dot4c_i32_i8_e32 v13, v12, v20
	s_nop 2
	flat_store_dword v[8:9], v13 offset:212
	flat_load_dword v12, v[4:5] offset:24
	s_nop 0
	flat_load_dword v13, v[6:7] offset:24
	s_waitcnt vmcnt(0) lgkmcnt(0)
	v_dot4c_i32_i8_e32 v14, v12, v13
	s_nop 2
	flat_store_dword v[8:9], v14 offset:216
	flat_load_dword v12, v[4:5] offset:24
	flat_load_dword v13, v[6:7] offset:28
	s_waitcnt vmcnt(0) lgkmcnt(0)
	v_dot4c_i32_i8_e32 v15, v12, v13
	s_nop 2
	flat_store_dword v[8:9], v15 offset:220
	flat_load_dword v12, v[4:5] offset:28
	;; [unrolled: 6-line block ×6, first 2 shown]
	flat_load_dwordx2 v[12:13], v[10:11]
	s_waitcnt vmcnt(0) lgkmcnt(0)
	v_ashrrev_i32_e32 v15, 31, v14
	v_add_co_u32_e32 v12, vcc, v12, v14
	v_addc_co_u32_e32 v13, vcc, v13, v15, vcc
	v_add_co_u32_e32 v12, vcc, s4, v12
	v_addc_co_u32_e32 v13, vcc, 0, v13, vcc
	flat_load_dwordx4 v[12:15], v[12:13] offset:256
	s_waitcnt vmcnt(0) lgkmcnt(0)
	flat_store_dwordx4 v[6:7], v[12:15] offset:16
	flat_load_dword v14, v[0:1] offset:16
	s_nop 0
	flat_load_dwordx2 v[12:13], v[2:3]
	s_waitcnt vmcnt(0) lgkmcnt(0)
	v_ashrrev_i32_e32 v15, 31, v14
	v_add_co_u32_e32 v12, vcc, v12, v14
	v_addc_co_u32_e32 v13, vcc, v13, v15, vcc
	v_add_co_u32_e32 v16, vcc, s4, v12
	v_addc_co_u32_e32 v17, vcc, 0, v13, vcc
	flat_load_dwordx4 v[12:15], v[16:17] offset:256
	flat_load_dword v20, v[4:5]
	s_waitcnt vmcnt(0) lgkmcnt(0)
	flat_store_dwordx4 v[4:5], v[12:15] offset:16
	flat_load_dword v21, v[6:7]
	flat_load_dwordx4 v[16:19], v[8:9]
	s_nop 0
	flat_load_dwordx4 v[12:15], v[8:9] offset:16
	s_waitcnt vmcnt(0) lgkmcnt(0)
	v_dot4c_i32_i8_e32 v16, v20, v21
	s_nop 2
	flat_store_dword v[8:9], v16
	flat_load_dword v16, v[4:5]
	s_nop 0
	flat_load_dword v20, v[6:7] offset:4
	s_waitcnt vmcnt(0) lgkmcnt(0)
	v_dot4c_i32_i8_e32 v17, v16, v20
	s_nop 2
	flat_store_dword v[8:9], v17 offset:4
	flat_load_dword v16, v[4:5]
	s_nop 0
	flat_load_dword v17, v[6:7] offset:8
	s_waitcnt vmcnt(0) lgkmcnt(0)
	v_dot4c_i32_i8_e32 v18, v16, v17
	s_nop 2
	flat_store_dword v[8:9], v18 offset:8
	flat_load_dword v16, v[4:5]
	flat_load_dword v17, v[6:7] offset:12
	s_waitcnt vmcnt(0) lgkmcnt(0)
	v_dot4c_i32_i8_e32 v19, v16, v17
	s_nop 2
	flat_store_dword v[8:9], v19 offset:12
	flat_load_dword v24, v[4:5] offset:4
	flat_load_dword v25, v[6:7]
	s_nop 0
	flat_load_dwordx4 v[16:19], v[8:9] offset:32
	flat_load_dwordx4 v[20:23], v[8:9] offset:48
	s_waitcnt vmcnt(0) lgkmcnt(0)
	v_dot4c_i32_i8_e32 v16, v24, v25
	s_nop 2
	flat_store_dword v[8:9], v16 offset:32
	flat_load_dword v16, v[4:5] offset:4
	s_nop 0
	flat_load_dword v24, v[6:7] offset:4
	s_waitcnt vmcnt(0) lgkmcnt(0)
	v_dot4c_i32_i8_e32 v17, v16, v24
	s_nop 2
	flat_store_dword v[8:9], v17 offset:36
	flat_load_dword v16, v[4:5] offset:4
	s_nop 0
	flat_load_dword v17, v[6:7] offset:8
	s_waitcnt vmcnt(0) lgkmcnt(0)
	v_dot4c_i32_i8_e32 v18, v16, v17
	s_nop 2
	flat_store_dword v[8:9], v18 offset:40
	flat_load_dword v16, v[4:5] offset:4
	flat_load_dword v17, v[6:7] offset:12
	s_waitcnt vmcnt(0) lgkmcnt(0)
	v_dot4c_i32_i8_e32 v19, v16, v17
	s_nop 2
	flat_store_dword v[8:9], v19 offset:44
	flat_load_dword v28, v[4:5] offset:8
	flat_load_dword v29, v[6:7]
	s_nop 0
	flat_load_dwordx4 v[16:19], v[8:9] offset:64
	flat_load_dwordx4 v[24:27], v[8:9] offset:80
	s_waitcnt vmcnt(0) lgkmcnt(0)
	v_dot4c_i32_i8_e32 v16, v28, v29
	s_nop 2
	flat_store_dword v[8:9], v16 offset:64
	flat_load_dword v16, v[4:5] offset:8
	s_nop 0
	flat_load_dword v28, v[6:7] offset:4
	s_waitcnt vmcnt(0) lgkmcnt(0)
	v_dot4c_i32_i8_e32 v17, v16, v28
	s_nop 2
	flat_store_dword v[8:9], v17 offset:68
	flat_load_dword v16, v[4:5] offset:8
	s_nop 0
	flat_load_dword v17, v[6:7] offset:8
	s_waitcnt vmcnt(0) lgkmcnt(0)
	v_dot4c_i32_i8_e32 v18, v16, v17
	s_nop 2
	flat_store_dword v[8:9], v18 offset:72
	flat_load_dword v16, v[4:5] offset:8
	;; [unrolled: 29-line block ×3, first 2 shown]
	flat_load_dword v17, v[6:7] offset:12
	s_waitcnt vmcnt(0) lgkmcnt(0)
	v_dot4c_i32_i8_e32 v19, v16, v17
	s_nop 2
	flat_store_dword v[8:9], v19 offset:108
	flat_load_dword v16, v[4:5]
	flat_load_dword v17, v[6:7] offset:16
	s_waitcnt vmcnt(0) lgkmcnt(0)
	v_dot4c_i32_i8_e32 v12, v16, v17
	s_nop 2
	flat_store_dword v[8:9], v12 offset:16
	flat_load_dword v12, v[4:5]
	s_nop 0
	flat_load_dword v16, v[6:7] offset:20
	s_waitcnt vmcnt(0) lgkmcnt(0)
	v_dot4c_i32_i8_e32 v13, v12, v16
	s_nop 2
	flat_store_dword v[8:9], v13 offset:20
	flat_load_dword v12, v[4:5]
	s_nop 0
	flat_load_dword v13, v[6:7] offset:24
	s_waitcnt vmcnt(0) lgkmcnt(0)
	v_dot4c_i32_i8_e32 v14, v12, v13
	s_nop 2
	flat_store_dword v[8:9], v14 offset:24
	flat_load_dword v12, v[4:5]
	flat_load_dword v13, v[6:7] offset:28
	s_waitcnt vmcnt(0) lgkmcnt(0)
	v_dot4c_i32_i8_e32 v15, v12, v13
	s_nop 2
	flat_store_dword v[8:9], v15 offset:28
	flat_load_dword v12, v[4:5] offset:4
	flat_load_dword v13, v[6:7] offset:16
	s_waitcnt vmcnt(0) lgkmcnt(0)
	v_dot4c_i32_i8_e32 v20, v12, v13
	s_nop 2
	flat_store_dword v[8:9], v20 offset:48
	flat_load_dword v12, v[4:5] offset:4
	;; [unrolled: 6-line block ×13, first 2 shown]
	flat_load_dwordx2 v[12:13], v[2:3]
	s_waitcnt vmcnt(0) lgkmcnt(0)
	v_ashrrev_i32_e32 v15, 31, v14
	v_add_co_u32_e32 v12, vcc, v12, v14
	v_addc_co_u32_e32 v13, vcc, v13, v15, vcc
	v_add_co_u32_e32 v16, vcc, s4, v12
	v_addc_co_u32_e32 v17, vcc, 0, v13, vcc
	flat_load_dwordx4 v[12:15], v[16:17] offset:512
	flat_load_dword v20, v[4:5] offset:16
	s_waitcnt vmcnt(0) lgkmcnt(0)
	flat_store_dwordx4 v[4:5], v[12:15]
	flat_load_dword v21, v[6:7]
	s_nop 0
	flat_load_dwordx4 v[12:15], v[8:9] offset:128
	flat_load_dwordx4 v[16:19], v[8:9] offset:160
	s_waitcnt vmcnt(0) lgkmcnt(0)
	v_dot4c_i32_i8_e32 v12, v20, v21
	s_nop 2
	flat_store_dword v[8:9], v12 offset:128
	flat_load_dword v12, v[4:5] offset:16
	s_nop 0
	flat_load_dword v20, v[6:7] offset:4
	s_waitcnt vmcnt(0) lgkmcnt(0)
	v_dot4c_i32_i8_e32 v13, v12, v20
	s_nop 2
	flat_store_dword v[8:9], v13 offset:132
	flat_load_dword v12, v[4:5] offset:16
	s_nop 0
	flat_load_dword v13, v[6:7] offset:8
	s_waitcnt vmcnt(0) lgkmcnt(0)
	v_dot4c_i32_i8_e32 v14, v12, v13
	s_nop 2
	flat_store_dword v[8:9], v14 offset:136
	flat_load_dword v12, v[4:5] offset:16
	flat_load_dword v13, v[6:7] offset:12
	s_waitcnt vmcnt(0) lgkmcnt(0)
	v_dot4c_i32_i8_e32 v15, v12, v13
	s_nop 2
	flat_store_dword v[8:9], v15 offset:140
	flat_load_dword v12, v[4:5] offset:20
	flat_load_dword v13, v[6:7]
	s_waitcnt vmcnt(0) lgkmcnt(0)
	v_dot4c_i32_i8_e32 v16, v12, v13
	s_nop 2
	flat_store_dword v[8:9], v16 offset:160
	flat_load_dword v12, v[4:5] offset:20
	flat_load_dword v13, v[6:7] offset:4
	s_waitcnt vmcnt(0) lgkmcnt(0)
	v_dot4c_i32_i8_e32 v17, v12, v13
	s_nop 2
	flat_store_dword v[8:9], v17 offset:164
	flat_load_dword v12, v[4:5] offset:20
	flat_load_dword v13, v[6:7] offset:8
	;; [unrolled: 6-line block ×3, first 2 shown]
	s_waitcnt vmcnt(0) lgkmcnt(0)
	v_dot4c_i32_i8_e32 v19, v12, v13
	s_nop 2
	flat_store_dword v[8:9], v19 offset:172
	flat_load_dword v20, v[4:5] offset:24
	flat_load_dword v21, v[6:7]
	flat_load_dwordx4 v[12:15], v[8:9] offset:192
	s_nop 0
	flat_load_dwordx4 v[16:19], v[8:9] offset:224
	s_waitcnt vmcnt(0) lgkmcnt(0)
	v_dot4c_i32_i8_e32 v12, v20, v21
	s_nop 2
	flat_store_dword v[8:9], v12 offset:192
	flat_load_dword v12, v[4:5] offset:24
	s_nop 0
	flat_load_dword v20, v[6:7] offset:4
	s_waitcnt vmcnt(0) lgkmcnt(0)
	v_dot4c_i32_i8_e32 v13, v12, v20
	s_nop 2
	flat_store_dword v[8:9], v13 offset:196
	flat_load_dword v12, v[4:5] offset:24
	s_nop 0
	flat_load_dword v13, v[6:7] offset:8
	s_waitcnt vmcnt(0) lgkmcnt(0)
	v_dot4c_i32_i8_e32 v14, v12, v13
	s_nop 2
	flat_store_dword v[8:9], v14 offset:200
	flat_load_dword v12, v[4:5] offset:24
	flat_load_dword v13, v[6:7] offset:12
	s_waitcnt vmcnt(0) lgkmcnt(0)
	v_dot4c_i32_i8_e32 v15, v12, v13
	s_nop 2
	flat_store_dword v[8:9], v15 offset:204
	flat_load_dword v12, v[4:5] offset:28
	flat_load_dword v13, v[6:7]
	s_waitcnt vmcnt(0) lgkmcnt(0)
	v_dot4c_i32_i8_e32 v16, v12, v13
	s_nop 2
	flat_store_dword v[8:9], v16 offset:224
	flat_load_dword v12, v[4:5] offset:28
	flat_load_dword v13, v[6:7] offset:4
	s_waitcnt vmcnt(0) lgkmcnt(0)
	v_dot4c_i32_i8_e32 v17, v12, v13
	s_nop 2
	flat_store_dword v[8:9], v17 offset:228
	flat_load_dword v12, v[4:5] offset:28
	flat_load_dword v13, v[6:7] offset:8
	;; [unrolled: 6-line block ×3, first 2 shown]
	s_waitcnt vmcnt(0) lgkmcnt(0)
	v_dot4c_i32_i8_e32 v19, v12, v13
	s_nop 2
	flat_store_dword v[8:9], v19 offset:236
	flat_load_dword v14, v[0:1] offset:48
	flat_load_dwordx2 v[12:13], v[10:11]
	s_waitcnt vmcnt(0) lgkmcnt(0)
	v_ashrrev_i32_e32 v15, 31, v14
	v_add_co_u32_e32 v12, vcc, v12, v14
	v_addc_co_u32_e32 v13, vcc, v13, v15, vcc
	v_add_co_u32_e32 v16, vcc, s4, v12
	v_addc_co_u32_e32 v17, vcc, 0, v13, vcc
	flat_load_dwordx4 v[12:15], v[16:17] offset:512
	flat_load_dword v18, v[6:7] offset:16
	s_waitcnt vmcnt(0) lgkmcnt(0)
	flat_store_dwordx4 v[6:7], v[12:15]
	flat_load_dword v16, v[4:5] offset:16
	s_nop 0
	flat_load_dwordx4 v[12:15], v[8:9] offset:144
	s_waitcnt vmcnt(0) lgkmcnt(0)
	v_dot4c_i32_i8_e32 v12, v16, v18
	s_nop 2
	flat_store_dword v[8:9], v12 offset:144
	flat_load_dword v12, v[4:5] offset:16
	s_nop 0
	flat_load_dword v16, v[6:7] offset:20
	s_waitcnt vmcnt(0) lgkmcnt(0)
	v_dot4c_i32_i8_e32 v13, v12, v16
	s_nop 2
	flat_store_dword v[8:9], v13 offset:148
	flat_load_dword v12, v[4:5] offset:16
	s_nop 0
	flat_load_dword v13, v[6:7] offset:24
	flat_load_dwordx4 v[16:19], v[8:9] offset:176
	s_waitcnt vmcnt(0) lgkmcnt(0)
	v_dot4c_i32_i8_e32 v14, v12, v13
	s_nop 2
	flat_store_dword v[8:9], v14 offset:152
	flat_load_dword v12, v[4:5] offset:16
	flat_load_dword v13, v[6:7] offset:28
	s_waitcnt vmcnt(0) lgkmcnt(0)
	v_dot4c_i32_i8_e32 v15, v12, v13
	s_nop 2
	flat_store_dword v[8:9], v15 offset:156
	flat_load_dword v12, v[4:5] offset:20
	flat_load_dword v13, v[6:7] offset:16
	;; [unrolled: 6-line block ×6, first 2 shown]
	flat_load_dwordx4 v[12:15], v[8:9] offset:208
	s_nop 0
	flat_load_dwordx4 v[16:19], v[8:9] offset:240
	s_waitcnt vmcnt(0) lgkmcnt(0)
	v_dot4c_i32_i8_e32 v12, v20, v21
	s_nop 2
	flat_store_dword v[8:9], v12 offset:208
	flat_load_dword v12, v[4:5] offset:24
	s_nop 0
	flat_load_dword v20, v[6:7] offset:20
	s_waitcnt vmcnt(0) lgkmcnt(0)
	v_dot4c_i32_i8_e32 v13, v12, v20
	s_nop 2
	flat_store_dword v[8:9], v13 offset:212
	flat_load_dword v12, v[4:5] offset:24
	s_nop 0
	flat_load_dword v13, v[6:7] offset:24
	s_waitcnt vmcnt(0) lgkmcnt(0)
	v_dot4c_i32_i8_e32 v14, v12, v13
	s_nop 2
	flat_store_dword v[8:9], v14 offset:216
	flat_load_dword v12, v[4:5] offset:24
	flat_load_dword v13, v[6:7] offset:28
	s_waitcnt vmcnt(0) lgkmcnt(0)
	v_dot4c_i32_i8_e32 v15, v12, v13
	s_nop 2
	flat_store_dword v[8:9], v15 offset:220
	flat_load_dword v12, v[4:5] offset:28
	;; [unrolled: 6-line block ×6, first 2 shown]
	flat_load_dwordx2 v[12:13], v[10:11]
	s_waitcnt vmcnt(0) lgkmcnt(0)
	v_ashrrev_i32_e32 v15, 31, v14
	v_add_co_u32_e32 v12, vcc, v12, v14
	v_addc_co_u32_e32 v13, vcc, v13, v15, vcc
	v_add_co_u32_e32 v12, vcc, s4, v12
	v_addc_co_u32_e32 v13, vcc, 0, v13, vcc
	flat_load_dwordx4 v[12:15], v[12:13] offset:768
	s_waitcnt vmcnt(0) lgkmcnt(0)
	flat_store_dwordx4 v[6:7], v[12:15] offset:16
	flat_load_dword v14, v[0:1] offset:16
	s_nop 0
	flat_load_dwordx2 v[12:13], v[2:3]
	s_waitcnt vmcnt(0) lgkmcnt(0)
	v_ashrrev_i32_e32 v15, 31, v14
	v_add_co_u32_e32 v12, vcc, v12, v14
	v_addc_co_u32_e32 v13, vcc, v13, v15, vcc
	v_add_co_u32_e32 v16, vcc, s4, v12
	v_addc_co_u32_e32 v17, vcc, 0, v13, vcc
	flat_load_dwordx4 v[12:15], v[16:17] offset:768
	flat_load_dword v20, v[4:5]
	s_waitcnt vmcnt(0) lgkmcnt(0)
	flat_store_dwordx4 v[4:5], v[12:15] offset:16
	flat_load_dword v21, v[6:7]
	flat_load_dwordx4 v[16:19], v[8:9]
	s_nop 0
	flat_load_dwordx4 v[12:15], v[8:9] offset:16
	s_waitcnt vmcnt(0) lgkmcnt(0)
	v_dot4c_i32_i8_e32 v16, v20, v21
	s_nop 2
	flat_store_dword v[8:9], v16
	flat_load_dword v16, v[4:5]
	s_nop 0
	flat_load_dword v20, v[6:7] offset:4
	s_waitcnt vmcnt(0) lgkmcnt(0)
	v_dot4c_i32_i8_e32 v17, v16, v20
	s_nop 2
	flat_store_dword v[8:9], v17 offset:4
	flat_load_dword v16, v[4:5]
	s_nop 0
	flat_load_dword v17, v[6:7] offset:8
	s_waitcnt vmcnt(0) lgkmcnt(0)
	v_dot4c_i32_i8_e32 v18, v16, v17
	s_nop 2
	flat_store_dword v[8:9], v18 offset:8
	flat_load_dword v16, v[4:5]
	flat_load_dword v17, v[6:7] offset:12
	s_waitcnt vmcnt(0) lgkmcnt(0)
	v_dot4c_i32_i8_e32 v19, v16, v17
	s_nop 2
	flat_store_dword v[8:9], v19 offset:12
	flat_load_dword v24, v[4:5] offset:4
	flat_load_dword v25, v[6:7]
	s_nop 0
	flat_load_dwordx4 v[16:19], v[8:9] offset:32
	flat_load_dwordx4 v[20:23], v[8:9] offset:48
	s_waitcnt vmcnt(0) lgkmcnt(0)
	v_dot4c_i32_i8_e32 v16, v24, v25
	s_nop 2
	flat_store_dword v[8:9], v16 offset:32
	flat_load_dword v16, v[4:5] offset:4
	s_nop 0
	flat_load_dword v24, v[6:7] offset:4
	s_waitcnt vmcnt(0) lgkmcnt(0)
	v_dot4c_i32_i8_e32 v17, v16, v24
	s_nop 2
	flat_store_dword v[8:9], v17 offset:36
	flat_load_dword v16, v[4:5] offset:4
	s_nop 0
	flat_load_dword v17, v[6:7] offset:8
	s_waitcnt vmcnt(0) lgkmcnt(0)
	v_dot4c_i32_i8_e32 v18, v16, v17
	s_nop 2
	flat_store_dword v[8:9], v18 offset:40
	flat_load_dword v16, v[4:5] offset:4
	flat_load_dword v17, v[6:7] offset:12
	s_waitcnt vmcnt(0) lgkmcnt(0)
	v_dot4c_i32_i8_e32 v19, v16, v17
	s_nop 2
	flat_store_dword v[8:9], v19 offset:44
	flat_load_dword v28, v[4:5] offset:8
	flat_load_dword v29, v[6:7]
	s_nop 0
	flat_load_dwordx4 v[16:19], v[8:9] offset:64
	flat_load_dwordx4 v[24:27], v[8:9] offset:80
	s_waitcnt vmcnt(0) lgkmcnt(0)
	v_dot4c_i32_i8_e32 v16, v28, v29
	s_nop 2
	flat_store_dword v[8:9], v16 offset:64
	flat_load_dword v16, v[4:5] offset:8
	s_nop 0
	flat_load_dword v28, v[6:7] offset:4
	s_waitcnt vmcnt(0) lgkmcnt(0)
	v_dot4c_i32_i8_e32 v17, v16, v28
	s_nop 2
	flat_store_dword v[8:9], v17 offset:68
	flat_load_dword v16, v[4:5] offset:8
	s_nop 0
	flat_load_dword v17, v[6:7] offset:8
	s_waitcnt vmcnt(0) lgkmcnt(0)
	v_dot4c_i32_i8_e32 v18, v16, v17
	s_nop 2
	flat_store_dword v[8:9], v18 offset:72
	flat_load_dword v16, v[4:5] offset:8
	;; [unrolled: 29-line block ×3, first 2 shown]
	flat_load_dword v17, v[6:7] offset:12
	s_waitcnt vmcnt(0) lgkmcnt(0)
	v_dot4c_i32_i8_e32 v19, v16, v17
	s_nop 2
	flat_store_dword v[8:9], v19 offset:108
	flat_load_dword v16, v[4:5]
	flat_load_dword v17, v[6:7] offset:16
	s_waitcnt vmcnt(0) lgkmcnt(0)
	v_dot4c_i32_i8_e32 v12, v16, v17
	s_nop 2
	flat_store_dword v[8:9], v12 offset:16
	flat_load_dword v12, v[4:5]
	s_nop 0
	flat_load_dword v16, v[6:7] offset:20
	s_waitcnt vmcnt(0) lgkmcnt(0)
	v_dot4c_i32_i8_e32 v13, v12, v16
	s_nop 2
	flat_store_dword v[8:9], v13 offset:20
	flat_load_dword v12, v[4:5]
	s_nop 0
	flat_load_dword v13, v[6:7] offset:24
	s_waitcnt vmcnt(0) lgkmcnt(0)
	v_dot4c_i32_i8_e32 v14, v12, v13
	s_nop 2
	flat_store_dword v[8:9], v14 offset:24
	flat_load_dword v12, v[4:5]
	flat_load_dword v13, v[6:7] offset:28
	s_waitcnt vmcnt(0) lgkmcnt(0)
	v_dot4c_i32_i8_e32 v15, v12, v13
	s_nop 2
	flat_store_dword v[8:9], v15 offset:28
	flat_load_dword v12, v[4:5] offset:4
	flat_load_dword v13, v[6:7] offset:16
	s_waitcnt vmcnt(0) lgkmcnt(0)
	v_dot4c_i32_i8_e32 v20, v12, v13
	s_nop 2
	flat_store_dword v[8:9], v20 offset:48
	flat_load_dword v12, v[4:5] offset:4
	;; [unrolled: 6-line block ×13, first 2 shown]
	flat_load_dwordx2 v[12:13], v[2:3]
	s_waitcnt vmcnt(0) lgkmcnt(0)
	v_ashrrev_i32_e32 v15, 31, v14
	v_add_co_u32_e32 v12, vcc, v12, v14
	v_addc_co_u32_e32 v13, vcc, v13, v15, vcc
	v_add_co_u32_e32 v16, vcc, s4, v12
	v_addc_co_u32_e32 v17, vcc, 0, v13, vcc
	flat_load_dwordx4 v[12:15], v[16:17] offset:1024
	flat_load_dword v20, v[4:5] offset:16
	s_waitcnt vmcnt(0) lgkmcnt(0)
	flat_store_dwordx4 v[4:5], v[12:15]
	flat_load_dword v21, v[6:7]
	s_nop 0
	flat_load_dwordx4 v[12:15], v[8:9] offset:128
	flat_load_dwordx4 v[16:19], v[8:9] offset:160
	s_waitcnt vmcnt(0) lgkmcnt(0)
	v_dot4c_i32_i8_e32 v12, v20, v21
	s_nop 2
	flat_store_dword v[8:9], v12 offset:128
	flat_load_dword v12, v[4:5] offset:16
	s_nop 0
	flat_load_dword v20, v[6:7] offset:4
	s_waitcnt vmcnt(0) lgkmcnt(0)
	v_dot4c_i32_i8_e32 v13, v12, v20
	s_nop 2
	flat_store_dword v[8:9], v13 offset:132
	flat_load_dword v12, v[4:5] offset:16
	s_nop 0
	flat_load_dword v13, v[6:7] offset:8
	s_waitcnt vmcnt(0) lgkmcnt(0)
	v_dot4c_i32_i8_e32 v14, v12, v13
	s_nop 2
	flat_store_dword v[8:9], v14 offset:136
	flat_load_dword v12, v[4:5] offset:16
	flat_load_dword v13, v[6:7] offset:12
	s_waitcnt vmcnt(0) lgkmcnt(0)
	v_dot4c_i32_i8_e32 v15, v12, v13
	s_nop 2
	flat_store_dword v[8:9], v15 offset:140
	flat_load_dword v12, v[4:5] offset:20
	flat_load_dword v13, v[6:7]
	s_waitcnt vmcnt(0) lgkmcnt(0)
	v_dot4c_i32_i8_e32 v16, v12, v13
	s_nop 2
	flat_store_dword v[8:9], v16 offset:160
	flat_load_dword v12, v[4:5] offset:20
	flat_load_dword v13, v[6:7] offset:4
	s_waitcnt vmcnt(0) lgkmcnt(0)
	v_dot4c_i32_i8_e32 v17, v12, v13
	s_nop 2
	flat_store_dword v[8:9], v17 offset:164
	flat_load_dword v12, v[4:5] offset:20
	flat_load_dword v13, v[6:7] offset:8
	;; [unrolled: 6-line block ×3, first 2 shown]
	s_waitcnt vmcnt(0) lgkmcnt(0)
	v_dot4c_i32_i8_e32 v19, v12, v13
	s_nop 2
	flat_store_dword v[8:9], v19 offset:172
	flat_load_dword v20, v[4:5] offset:24
	flat_load_dword v21, v[6:7]
	flat_load_dwordx4 v[12:15], v[8:9] offset:192
	s_nop 0
	flat_load_dwordx4 v[16:19], v[8:9] offset:224
	s_waitcnt vmcnt(0) lgkmcnt(0)
	v_dot4c_i32_i8_e32 v12, v20, v21
	s_nop 2
	flat_store_dword v[8:9], v12 offset:192
	flat_load_dword v12, v[4:5] offset:24
	s_nop 0
	flat_load_dword v20, v[6:7] offset:4
	s_waitcnt vmcnt(0) lgkmcnt(0)
	v_dot4c_i32_i8_e32 v13, v12, v20
	s_nop 2
	flat_store_dword v[8:9], v13 offset:196
	flat_load_dword v12, v[4:5] offset:24
	s_nop 0
	flat_load_dword v13, v[6:7] offset:8
	s_waitcnt vmcnt(0) lgkmcnt(0)
	v_dot4c_i32_i8_e32 v14, v12, v13
	s_nop 2
	flat_store_dword v[8:9], v14 offset:200
	flat_load_dword v12, v[4:5] offset:24
	flat_load_dword v13, v[6:7] offset:12
	s_waitcnt vmcnt(0) lgkmcnt(0)
	v_dot4c_i32_i8_e32 v15, v12, v13
	s_nop 2
	flat_store_dword v[8:9], v15 offset:204
	flat_load_dword v12, v[4:5] offset:28
	flat_load_dword v13, v[6:7]
	s_waitcnt vmcnt(0) lgkmcnt(0)
	v_dot4c_i32_i8_e32 v16, v12, v13
	s_nop 2
	flat_store_dword v[8:9], v16 offset:224
	flat_load_dword v12, v[4:5] offset:28
	flat_load_dword v13, v[6:7] offset:4
	s_waitcnt vmcnt(0) lgkmcnt(0)
	v_dot4c_i32_i8_e32 v17, v12, v13
	s_nop 2
	flat_store_dword v[8:9], v17 offset:228
	flat_load_dword v12, v[4:5] offset:28
	flat_load_dword v13, v[6:7] offset:8
	;; [unrolled: 6-line block ×3, first 2 shown]
	s_waitcnt vmcnt(0) lgkmcnt(0)
	v_dot4c_i32_i8_e32 v19, v12, v13
	s_nop 2
	flat_store_dword v[8:9], v19 offset:236
	flat_load_dword v14, v[0:1] offset:48
	flat_load_dwordx2 v[12:13], v[10:11]
	s_waitcnt vmcnt(0) lgkmcnt(0)
	v_ashrrev_i32_e32 v15, 31, v14
	v_add_co_u32_e32 v12, vcc, v12, v14
	v_addc_co_u32_e32 v13, vcc, v13, v15, vcc
	v_add_co_u32_e32 v16, vcc, s4, v12
	v_addc_co_u32_e32 v17, vcc, 0, v13, vcc
	flat_load_dwordx4 v[12:15], v[16:17] offset:1024
	flat_load_dword v20, v[6:7] offset:16
	s_waitcnt vmcnt(0) lgkmcnt(0)
	flat_store_dwordx4 v[6:7], v[12:15]
	flat_load_dword v21, v[4:5] offset:16
	s_nop 0
	flat_load_dwordx4 v[12:15], v[8:9] offset:144
	flat_load_dwordx4 v[16:19], v[8:9] offset:176
	s_waitcnt vmcnt(0) lgkmcnt(0)
	v_dot4c_i32_i8_e32 v12, v21, v20
	s_nop 2
	flat_store_dword v[8:9], v12 offset:144
	flat_load_dword v12, v[4:5] offset:16
	s_nop 0
	flat_load_dword v20, v[6:7] offset:20
	s_waitcnt vmcnt(0) lgkmcnt(0)
	v_dot4c_i32_i8_e32 v13, v12, v20
	s_nop 2
	flat_store_dword v[8:9], v13 offset:148
	flat_load_dword v12, v[4:5] offset:16
	s_nop 0
	flat_load_dword v13, v[6:7] offset:24
	s_waitcnt vmcnt(0) lgkmcnt(0)
	v_dot4c_i32_i8_e32 v14, v12, v13
	s_nop 2
	flat_store_dword v[8:9], v14 offset:152
	flat_load_dword v12, v[4:5] offset:16
	flat_load_dword v13, v[6:7] offset:28
	s_waitcnt vmcnt(0) lgkmcnt(0)
	v_dot4c_i32_i8_e32 v15, v12, v13
	s_nop 2
	flat_store_dword v[8:9], v15 offset:156
	flat_load_dword v12, v[4:5] offset:20
	;; [unrolled: 6-line block ×6, first 2 shown]
	flat_load_dword v21, v[6:7] offset:16
	flat_load_dwordx4 v[12:15], v[8:9] offset:208
	s_nop 0
	flat_load_dwordx4 v[16:19], v[8:9] offset:240
	s_waitcnt vmcnt(0) lgkmcnt(0)
	v_dot4c_i32_i8_e32 v12, v20, v21
	s_nop 2
	flat_store_dword v[8:9], v12 offset:208
	flat_load_dword v12, v[4:5] offset:24
	s_nop 0
	flat_load_dword v20, v[6:7] offset:20
	s_waitcnt vmcnt(0) lgkmcnt(0)
	v_dot4c_i32_i8_e32 v13, v12, v20
	s_nop 2
	flat_store_dword v[8:9], v13 offset:212
	flat_load_dword v12, v[4:5] offset:24
	s_nop 0
	flat_load_dword v13, v[6:7] offset:24
	s_waitcnt vmcnt(0) lgkmcnt(0)
	v_dot4c_i32_i8_e32 v14, v12, v13
	s_nop 2
	flat_store_dword v[8:9], v14 offset:216
	flat_load_dword v12, v[4:5] offset:24
	flat_load_dword v13, v[6:7] offset:28
	s_waitcnt vmcnt(0) lgkmcnt(0)
	v_dot4c_i32_i8_e32 v15, v12, v13
	s_nop 2
	flat_store_dword v[8:9], v15 offset:220
	flat_load_dword v12, v[4:5] offset:28
	;; [unrolled: 6-line block ×6, first 2 shown]
	flat_load_dwordx2 v[12:13], v[10:11]
	s_waitcnt vmcnt(0) lgkmcnt(0)
	v_ashrrev_i32_e32 v15, 31, v14
	v_add_co_u32_e32 v12, vcc, v12, v14
	v_addc_co_u32_e32 v13, vcc, v13, v15, vcc
	v_add_co_u32_e32 v12, vcc, s4, v12
	v_addc_co_u32_e32 v13, vcc, 0, v13, vcc
	flat_load_dwordx4 v[12:15], v[12:13] offset:1280
	s_waitcnt vmcnt(0) lgkmcnt(0)
	flat_store_dwordx4 v[6:7], v[12:15] offset:16
	flat_load_dword v14, v[0:1] offset:16
	s_nop 0
	flat_load_dwordx2 v[12:13], v[2:3]
	s_waitcnt vmcnt(0) lgkmcnt(0)
	v_ashrrev_i32_e32 v15, 31, v14
	v_add_co_u32_e32 v12, vcc, v12, v14
	v_addc_co_u32_e32 v13, vcc, v13, v15, vcc
	v_add_co_u32_e32 v16, vcc, s4, v12
	v_addc_co_u32_e32 v17, vcc, 0, v13, vcc
	flat_load_dwordx4 v[12:15], v[16:17] offset:1280
	flat_load_dword v20, v[4:5]
	s_waitcnt vmcnt(0) lgkmcnt(0)
	flat_store_dwordx4 v[4:5], v[12:15] offset:16
	flat_load_dword v21, v[6:7]
	flat_load_dwordx4 v[16:19], v[8:9]
	s_nop 0
	flat_load_dwordx4 v[12:15], v[8:9] offset:16
	s_waitcnt vmcnt(0) lgkmcnt(0)
	v_dot4c_i32_i8_e32 v16, v20, v21
	s_nop 2
	flat_store_dword v[8:9], v16
	flat_load_dword v16, v[4:5]
	s_nop 0
	flat_load_dword v20, v[6:7] offset:4
	s_waitcnt vmcnt(0) lgkmcnt(0)
	v_dot4c_i32_i8_e32 v17, v16, v20
	s_nop 2
	flat_store_dword v[8:9], v17 offset:4
	flat_load_dword v16, v[4:5]
	s_nop 0
	flat_load_dword v17, v[6:7] offset:8
	s_waitcnt vmcnt(0) lgkmcnt(0)
	v_dot4c_i32_i8_e32 v18, v16, v17
	s_nop 2
	flat_store_dword v[8:9], v18 offset:8
	flat_load_dword v16, v[4:5]
	flat_load_dword v17, v[6:7] offset:12
	s_waitcnt vmcnt(0) lgkmcnt(0)
	v_dot4c_i32_i8_e32 v19, v16, v17
	s_nop 2
	flat_store_dword v[8:9], v19 offset:12
	flat_load_dword v24, v[4:5] offset:4
	flat_load_dword v25, v[6:7]
	s_nop 0
	flat_load_dwordx4 v[16:19], v[8:9] offset:32
	flat_load_dwordx4 v[20:23], v[8:9] offset:48
	s_waitcnt vmcnt(0) lgkmcnt(0)
	v_dot4c_i32_i8_e32 v16, v24, v25
	s_nop 2
	flat_store_dword v[8:9], v16 offset:32
	flat_load_dword v16, v[4:5] offset:4
	s_nop 0
	flat_load_dword v24, v[6:7] offset:4
	s_waitcnt vmcnt(0) lgkmcnt(0)
	v_dot4c_i32_i8_e32 v17, v16, v24
	s_nop 2
	flat_store_dword v[8:9], v17 offset:36
	flat_load_dword v16, v[4:5] offset:4
	s_nop 0
	flat_load_dword v17, v[6:7] offset:8
	s_waitcnt vmcnt(0) lgkmcnt(0)
	v_dot4c_i32_i8_e32 v18, v16, v17
	s_nop 2
	flat_store_dword v[8:9], v18 offset:40
	flat_load_dword v16, v[4:5] offset:4
	flat_load_dword v17, v[6:7] offset:12
	s_waitcnt vmcnt(0) lgkmcnt(0)
	v_dot4c_i32_i8_e32 v19, v16, v17
	s_nop 2
	flat_store_dword v[8:9], v19 offset:44
	flat_load_dword v28, v[4:5] offset:8
	flat_load_dword v29, v[6:7]
	s_nop 0
	flat_load_dwordx4 v[16:19], v[8:9] offset:64
	flat_load_dwordx4 v[24:27], v[8:9] offset:80
	s_waitcnt vmcnt(0) lgkmcnt(0)
	v_dot4c_i32_i8_e32 v16, v28, v29
	s_nop 2
	flat_store_dword v[8:9], v16 offset:64
	flat_load_dword v16, v[4:5] offset:8
	s_nop 0
	flat_load_dword v28, v[6:7] offset:4
	s_waitcnt vmcnt(0) lgkmcnt(0)
	v_dot4c_i32_i8_e32 v17, v16, v28
	s_nop 2
	flat_store_dword v[8:9], v17 offset:68
	flat_load_dword v16, v[4:5] offset:8
	s_nop 0
	flat_load_dword v17, v[6:7] offset:8
	s_waitcnt vmcnt(0) lgkmcnt(0)
	v_dot4c_i32_i8_e32 v18, v16, v17
	s_nop 2
	flat_store_dword v[8:9], v18 offset:72
	flat_load_dword v16, v[4:5] offset:8
	;; [unrolled: 29-line block ×3, first 2 shown]
	flat_load_dword v17, v[6:7] offset:12
	s_waitcnt vmcnt(0) lgkmcnt(0)
	v_dot4c_i32_i8_e32 v19, v16, v17
	s_nop 2
	flat_store_dword v[8:9], v19 offset:108
	flat_load_dword v16, v[4:5]
	flat_load_dword v17, v[6:7] offset:16
	s_waitcnt vmcnt(0) lgkmcnt(0)
	v_dot4c_i32_i8_e32 v12, v16, v17
	s_nop 2
	flat_store_dword v[8:9], v12 offset:16
	flat_load_dword v12, v[4:5]
	s_nop 0
	flat_load_dword v16, v[6:7] offset:20
	s_waitcnt vmcnt(0) lgkmcnt(0)
	v_dot4c_i32_i8_e32 v13, v12, v16
	s_nop 2
	flat_store_dword v[8:9], v13 offset:20
	flat_load_dword v12, v[4:5]
	s_nop 0
	flat_load_dword v13, v[6:7] offset:24
	s_waitcnt vmcnt(0) lgkmcnt(0)
	v_dot4c_i32_i8_e32 v14, v12, v13
	s_nop 2
	flat_store_dword v[8:9], v14 offset:24
	flat_load_dword v12, v[4:5]
	flat_load_dword v13, v[6:7] offset:28
	s_waitcnt vmcnt(0) lgkmcnt(0)
	v_dot4c_i32_i8_e32 v15, v12, v13
	s_nop 2
	flat_store_dword v[8:9], v15 offset:28
	flat_load_dword v12, v[4:5] offset:4
	flat_load_dword v13, v[6:7] offset:16
	s_waitcnt vmcnt(0) lgkmcnt(0)
	v_dot4c_i32_i8_e32 v20, v12, v13
	s_nop 2
	flat_store_dword v[8:9], v20 offset:48
	flat_load_dword v12, v[4:5] offset:4
	;; [unrolled: 6-line block ×13, first 2 shown]
	flat_load_dwordx2 v[12:13], v[2:3]
	s_waitcnt vmcnt(0) lgkmcnt(0)
	v_ashrrev_i32_e32 v15, 31, v14
	v_add_co_u32_e32 v12, vcc, v12, v14
	v_addc_co_u32_e32 v13, vcc, v13, v15, vcc
	v_add_co_u32_e32 v16, vcc, s4, v12
	v_addc_co_u32_e32 v17, vcc, 0, v13, vcc
	flat_load_dwordx4 v[12:15], v[16:17] offset:1536
	flat_load_dword v20, v[4:5] offset:16
	s_waitcnt vmcnt(0) lgkmcnt(0)
	flat_store_dwordx4 v[4:5], v[12:15]
	flat_load_dword v21, v[6:7]
	s_nop 0
	flat_load_dwordx4 v[12:15], v[8:9] offset:128
	flat_load_dwordx4 v[16:19], v[8:9] offset:160
	s_waitcnt vmcnt(0) lgkmcnt(0)
	v_dot4c_i32_i8_e32 v12, v20, v21
	s_nop 2
	flat_store_dword v[8:9], v12 offset:128
	flat_load_dword v12, v[4:5] offset:16
	s_nop 0
	flat_load_dword v20, v[6:7] offset:4
	s_waitcnt vmcnt(0) lgkmcnt(0)
	v_dot4c_i32_i8_e32 v13, v12, v20
	s_nop 2
	flat_store_dword v[8:9], v13 offset:132
	flat_load_dword v12, v[4:5] offset:16
	s_nop 0
	flat_load_dword v13, v[6:7] offset:8
	s_waitcnt vmcnt(0) lgkmcnt(0)
	v_dot4c_i32_i8_e32 v14, v12, v13
	s_nop 2
	flat_store_dword v[8:9], v14 offset:136
	flat_load_dword v12, v[4:5] offset:16
	flat_load_dword v13, v[6:7] offset:12
	s_waitcnt vmcnt(0) lgkmcnt(0)
	v_dot4c_i32_i8_e32 v15, v12, v13
	s_nop 2
	flat_store_dword v[8:9], v15 offset:140
	flat_load_dword v12, v[4:5] offset:20
	flat_load_dword v13, v[6:7]
	s_waitcnt vmcnt(0) lgkmcnt(0)
	v_dot4c_i32_i8_e32 v16, v12, v13
	s_nop 2
	flat_store_dword v[8:9], v16 offset:160
	flat_load_dword v12, v[4:5] offset:20
	flat_load_dword v13, v[6:7] offset:4
	s_waitcnt vmcnt(0) lgkmcnt(0)
	v_dot4c_i32_i8_e32 v17, v12, v13
	s_nop 2
	flat_store_dword v[8:9], v17 offset:164
	flat_load_dword v12, v[4:5] offset:20
	flat_load_dword v13, v[6:7] offset:8
	;; [unrolled: 6-line block ×3, first 2 shown]
	s_waitcnt vmcnt(0) lgkmcnt(0)
	v_dot4c_i32_i8_e32 v19, v12, v13
	s_nop 2
	flat_store_dword v[8:9], v19 offset:172
	flat_load_dword v20, v[4:5] offset:24
	flat_load_dword v21, v[6:7]
	flat_load_dwordx4 v[12:15], v[8:9] offset:192
	s_nop 0
	flat_load_dwordx4 v[16:19], v[8:9] offset:224
	s_waitcnt vmcnt(0) lgkmcnt(0)
	v_dot4c_i32_i8_e32 v12, v20, v21
	s_nop 2
	flat_store_dword v[8:9], v12 offset:192
	flat_load_dword v12, v[4:5] offset:24
	s_nop 0
	flat_load_dword v20, v[6:7] offset:4
	s_waitcnt vmcnt(0) lgkmcnt(0)
	v_dot4c_i32_i8_e32 v13, v12, v20
	s_nop 2
	flat_store_dword v[8:9], v13 offset:196
	flat_load_dword v12, v[4:5] offset:24
	s_nop 0
	flat_load_dword v13, v[6:7] offset:8
	s_waitcnt vmcnt(0) lgkmcnt(0)
	v_dot4c_i32_i8_e32 v14, v12, v13
	s_nop 2
	flat_store_dword v[8:9], v14 offset:200
	flat_load_dword v12, v[4:5] offset:24
	flat_load_dword v13, v[6:7] offset:12
	s_waitcnt vmcnt(0) lgkmcnt(0)
	v_dot4c_i32_i8_e32 v15, v12, v13
	s_nop 2
	flat_store_dword v[8:9], v15 offset:204
	flat_load_dword v12, v[4:5] offset:28
	flat_load_dword v13, v[6:7]
	s_waitcnt vmcnt(0) lgkmcnt(0)
	v_dot4c_i32_i8_e32 v16, v12, v13
	s_nop 2
	flat_store_dword v[8:9], v16 offset:224
	flat_load_dword v12, v[4:5] offset:28
	flat_load_dword v13, v[6:7] offset:4
	s_waitcnt vmcnt(0) lgkmcnt(0)
	v_dot4c_i32_i8_e32 v17, v12, v13
	s_nop 2
	flat_store_dword v[8:9], v17 offset:228
	flat_load_dword v12, v[4:5] offset:28
	flat_load_dword v13, v[6:7] offset:8
	;; [unrolled: 6-line block ×3, first 2 shown]
	s_waitcnt vmcnt(0) lgkmcnt(0)
	v_dot4c_i32_i8_e32 v19, v12, v13
	s_nop 2
	flat_store_dword v[8:9], v19 offset:236
	flat_load_dword v14, v[0:1] offset:48
	flat_load_dwordx2 v[12:13], v[10:11]
	s_waitcnt vmcnt(0) lgkmcnt(0)
	v_ashrrev_i32_e32 v15, 31, v14
	v_add_co_u32_e32 v12, vcc, v12, v14
	v_addc_co_u32_e32 v13, vcc, v13, v15, vcc
	v_add_co_u32_e32 v16, vcc, s4, v12
	v_addc_co_u32_e32 v17, vcc, 0, v13, vcc
	flat_load_dwordx4 v[12:15], v[16:17] offset:1536
	flat_load_dword v20, v[6:7] offset:16
	s_waitcnt vmcnt(0) lgkmcnt(0)
	flat_store_dwordx4 v[6:7], v[12:15]
	flat_load_dword v21, v[4:5] offset:16
	s_nop 0
	flat_load_dwordx4 v[12:15], v[8:9] offset:144
	flat_load_dwordx4 v[16:19], v[8:9] offset:176
	s_waitcnt vmcnt(0) lgkmcnt(0)
	v_dot4c_i32_i8_e32 v12, v21, v20
	s_nop 2
	flat_store_dword v[8:9], v12 offset:144
	flat_load_dword v12, v[4:5] offset:16
	s_nop 0
	flat_load_dword v20, v[6:7] offset:20
	s_waitcnt vmcnt(0) lgkmcnt(0)
	v_dot4c_i32_i8_e32 v13, v12, v20
	s_nop 2
	flat_store_dword v[8:9], v13 offset:148
	flat_load_dword v12, v[4:5] offset:16
	s_nop 0
	flat_load_dword v13, v[6:7] offset:24
	s_waitcnt vmcnt(0) lgkmcnt(0)
	v_dot4c_i32_i8_e32 v14, v12, v13
	s_nop 2
	flat_store_dword v[8:9], v14 offset:152
	flat_load_dword v12, v[4:5] offset:16
	flat_load_dword v13, v[6:7] offset:28
	s_waitcnt vmcnt(0) lgkmcnt(0)
	v_dot4c_i32_i8_e32 v15, v12, v13
	s_nop 2
	flat_store_dword v[8:9], v15 offset:156
	flat_load_dword v12, v[4:5] offset:20
	;; [unrolled: 6-line block ×6, first 2 shown]
	flat_load_dword v21, v[6:7] offset:16
	flat_load_dwordx4 v[12:15], v[8:9] offset:208
	s_nop 0
	flat_load_dwordx4 v[16:19], v[8:9] offset:240
	s_waitcnt vmcnt(0) lgkmcnt(0)
	v_dot4c_i32_i8_e32 v12, v20, v21
	s_nop 2
	flat_store_dword v[8:9], v12 offset:208
	flat_load_dword v12, v[4:5] offset:24
	s_nop 0
	flat_load_dword v20, v[6:7] offset:20
	s_waitcnt vmcnt(0) lgkmcnt(0)
	v_dot4c_i32_i8_e32 v13, v12, v20
	s_nop 2
	flat_store_dword v[8:9], v13 offset:212
	flat_load_dword v12, v[4:5] offset:24
	s_nop 0
	flat_load_dword v13, v[6:7] offset:24
	s_waitcnt vmcnt(0) lgkmcnt(0)
	v_dot4c_i32_i8_e32 v14, v12, v13
	s_nop 2
	flat_store_dword v[8:9], v14 offset:216
	flat_load_dword v12, v[4:5] offset:24
	flat_load_dword v13, v[6:7] offset:28
	s_waitcnt vmcnt(0) lgkmcnt(0)
	v_dot4c_i32_i8_e32 v15, v12, v13
	s_nop 2
	flat_store_dword v[8:9], v15 offset:220
	flat_load_dword v12, v[4:5] offset:28
	flat_load_dword v13, v[6:7] offset:16
	s_waitcnt vmcnt(0) lgkmcnt(0)
	v_dot4c_i32_i8_e32 v16, v12, v13
	s_nop 2
	flat_store_dword v[8:9], v16 offset:240
	flat_load_dword v12, v[4:5] offset:28
	flat_load_dword v13, v[6:7] offset:20
	s_waitcnt vmcnt(0) lgkmcnt(0)
	v_dot4c_i32_i8_e32 v17, v12, v13
	s_nop 2
	flat_store_dword v[8:9], v17 offset:244
	flat_load_dword v12, v[4:5] offset:28
	flat_load_dword v13, v[6:7] offset:24
	s_waitcnt vmcnt(0) lgkmcnt(0)
	v_dot4c_i32_i8_e32 v18, v12, v13
	s_nop 2
	flat_store_dword v[8:9], v18 offset:248
	flat_load_dword v12, v[4:5] offset:28
	flat_load_dword v13, v[6:7] offset:28
	s_waitcnt vmcnt(0) lgkmcnt(0)
	v_dot4c_i32_i8_e32 v19, v12, v13
	s_nop 2
	flat_store_dword v[8:9], v19 offset:252
	flat_load_dword v14, v[0:1] offset:48
	flat_load_dwordx2 v[12:13], v[10:11]
	s_waitcnt vmcnt(0) lgkmcnt(0)
	v_ashrrev_i32_e32 v15, 31, v14
	v_add_co_u32_e32 v12, vcc, v12, v14
	v_addc_co_u32_e32 v13, vcc, v13, v15, vcc
	v_add_co_u32_e32 v12, vcc, s4, v12
	v_addc_co_u32_e32 v13, vcc, 0, v13, vcc
	flat_load_dwordx4 v[12:15], v[12:13] offset:1792
	s_waitcnt vmcnt(0) lgkmcnt(0)
	flat_store_dwordx4 v[6:7], v[12:15] offset:16
	flat_load_dword v14, v[0:1] offset:16
	s_nop 0
	flat_load_dwordx2 v[12:13], v[2:3]
	s_waitcnt vmcnt(0) lgkmcnt(0)
	v_ashrrev_i32_e32 v15, 31, v14
	v_add_co_u32_e32 v12, vcc, v12, v14
	v_addc_co_u32_e32 v13, vcc, v13, v15, vcc
	v_add_co_u32_e32 v16, vcc, s4, v12
	v_addc_co_u32_e32 v17, vcc, 0, v13, vcc
	flat_load_dwordx4 v[12:15], v[16:17] offset:1792
	flat_load_dword v20, v[4:5]
	s_waitcnt vmcnt(0) lgkmcnt(0)
	flat_store_dwordx4 v[4:5], v[12:15] offset:16
	flat_load_dword v21, v[6:7]
	flat_load_dwordx4 v[16:19], v[8:9]
	s_nop 0
	flat_load_dwordx4 v[12:15], v[8:9] offset:16
	s_waitcnt vmcnt(0) lgkmcnt(0)
	v_dot4c_i32_i8_e32 v16, v20, v21
	s_nop 2
	flat_store_dword v[8:9], v16
	flat_load_dword v16, v[4:5]
	s_nop 0
	flat_load_dword v20, v[6:7] offset:4
	s_waitcnt vmcnt(0) lgkmcnt(0)
	v_dot4c_i32_i8_e32 v17, v16, v20
	s_nop 2
	flat_store_dword v[8:9], v17 offset:4
	flat_load_dword v16, v[4:5]
	s_nop 0
	flat_load_dword v17, v[6:7] offset:8
	s_waitcnt vmcnt(0) lgkmcnt(0)
	v_dot4c_i32_i8_e32 v18, v16, v17
	s_nop 2
	flat_store_dword v[8:9], v18 offset:8
	flat_load_dword v16, v[4:5]
	flat_load_dword v17, v[6:7] offset:12
	s_waitcnt vmcnt(0) lgkmcnt(0)
	v_dot4c_i32_i8_e32 v19, v16, v17
	s_nop 2
	flat_store_dword v[8:9], v19 offset:12
	flat_load_dword v24, v[4:5] offset:4
	flat_load_dword v25, v[6:7]
	s_nop 0
	flat_load_dwordx4 v[16:19], v[8:9] offset:32
	flat_load_dwordx4 v[20:23], v[8:9] offset:48
	s_waitcnt vmcnt(0) lgkmcnt(0)
	v_dot4c_i32_i8_e32 v16, v24, v25
	s_nop 2
	flat_store_dword v[8:9], v16 offset:32
	flat_load_dword v16, v[4:5] offset:4
	s_nop 0
	flat_load_dword v24, v[6:7] offset:4
	s_waitcnt vmcnt(0) lgkmcnt(0)
	v_dot4c_i32_i8_e32 v17, v16, v24
	s_nop 2
	flat_store_dword v[8:9], v17 offset:36
	flat_load_dword v16, v[4:5] offset:4
	s_nop 0
	flat_load_dword v17, v[6:7] offset:8
	s_waitcnt vmcnt(0) lgkmcnt(0)
	v_dot4c_i32_i8_e32 v18, v16, v17
	s_nop 2
	flat_store_dword v[8:9], v18 offset:40
	flat_load_dword v16, v[4:5] offset:4
	flat_load_dword v17, v[6:7] offset:12
	s_waitcnt vmcnt(0) lgkmcnt(0)
	v_dot4c_i32_i8_e32 v19, v16, v17
	s_nop 2
	flat_store_dword v[8:9], v19 offset:44
	flat_load_dword v28, v[4:5] offset:8
	flat_load_dword v29, v[6:7]
	s_nop 0
	flat_load_dwordx4 v[16:19], v[8:9] offset:64
	flat_load_dwordx4 v[24:27], v[8:9] offset:80
	s_waitcnt vmcnt(0) lgkmcnt(0)
	v_dot4c_i32_i8_e32 v16, v28, v29
	s_nop 2
	flat_store_dword v[8:9], v16 offset:64
	flat_load_dword v16, v[4:5] offset:8
	s_nop 0
	flat_load_dword v28, v[6:7] offset:4
	s_waitcnt vmcnt(0) lgkmcnt(0)
	v_dot4c_i32_i8_e32 v17, v16, v28
	s_nop 2
	flat_store_dword v[8:9], v17 offset:68
	flat_load_dword v16, v[4:5] offset:8
	s_nop 0
	flat_load_dword v17, v[6:7] offset:8
	s_waitcnt vmcnt(0) lgkmcnt(0)
	v_dot4c_i32_i8_e32 v18, v16, v17
	s_nop 2
	flat_store_dword v[8:9], v18 offset:72
	flat_load_dword v16, v[4:5] offset:8
	;; [unrolled: 29-line block ×3, first 2 shown]
	flat_load_dword v17, v[6:7] offset:12
	s_waitcnt vmcnt(0) lgkmcnt(0)
	v_dot4c_i32_i8_e32 v19, v16, v17
	s_nop 2
	flat_store_dword v[8:9], v19 offset:108
	flat_load_dword v16, v[4:5]
	flat_load_dword v17, v[6:7] offset:16
	s_waitcnt vmcnt(0) lgkmcnt(0)
	v_dot4c_i32_i8_e32 v12, v16, v17
	s_nop 2
	flat_store_dword v[8:9], v12 offset:16
	flat_load_dword v12, v[4:5]
	s_nop 0
	flat_load_dword v16, v[6:7] offset:20
	s_waitcnt vmcnt(0) lgkmcnt(0)
	v_dot4c_i32_i8_e32 v13, v12, v16
	s_nop 2
	flat_store_dword v[8:9], v13 offset:20
	flat_load_dword v12, v[4:5]
	s_nop 0
	flat_load_dword v13, v[6:7] offset:24
	s_waitcnt vmcnt(0) lgkmcnt(0)
	v_dot4c_i32_i8_e32 v14, v12, v13
	s_nop 2
	flat_store_dword v[8:9], v14 offset:24
	flat_load_dword v12, v[4:5]
	flat_load_dword v13, v[6:7] offset:28
	s_waitcnt vmcnt(0) lgkmcnt(0)
	v_dot4c_i32_i8_e32 v15, v12, v13
	s_nop 2
	flat_store_dword v[8:9], v15 offset:28
	flat_load_dword v12, v[4:5] offset:4
	flat_load_dword v13, v[6:7] offset:16
	s_waitcnt vmcnt(0) lgkmcnt(0)
	v_dot4c_i32_i8_e32 v20, v12, v13
	s_nop 2
	flat_store_dword v[8:9], v20 offset:48
	flat_load_dword v12, v[4:5] offset:4
	;; [unrolled: 6-line block ×13, first 2 shown]
	flat_load_dwordx2 v[12:13], v[2:3]
	s_waitcnt vmcnt(0) lgkmcnt(0)
	v_ashrrev_i32_e32 v15, 31, v14
	v_add_co_u32_e32 v12, vcc, v12, v14
	v_addc_co_u32_e32 v13, vcc, v13, v15, vcc
	v_add_co_u32_e32 v16, vcc, s4, v12
	v_addc_co_u32_e32 v17, vcc, 0, v13, vcc
	flat_load_dwordx4 v[12:15], v[16:17] offset:2048
	flat_load_dword v20, v[4:5] offset:16
	s_waitcnt vmcnt(0) lgkmcnt(0)
	flat_store_dwordx4 v[4:5], v[12:15]
	flat_load_dword v21, v[6:7]
	s_nop 0
	flat_load_dwordx4 v[12:15], v[8:9] offset:128
	flat_load_dwordx4 v[16:19], v[8:9] offset:160
	s_waitcnt vmcnt(0) lgkmcnt(0)
	v_dot4c_i32_i8_e32 v12, v20, v21
	s_nop 2
	flat_store_dword v[8:9], v12 offset:128
	flat_load_dword v12, v[4:5] offset:16
	s_nop 0
	flat_load_dword v20, v[6:7] offset:4
	s_waitcnt vmcnt(0) lgkmcnt(0)
	v_dot4c_i32_i8_e32 v13, v12, v20
	s_nop 2
	flat_store_dword v[8:9], v13 offset:132
	flat_load_dword v12, v[4:5] offset:16
	s_nop 0
	flat_load_dword v13, v[6:7] offset:8
	s_waitcnt vmcnt(0) lgkmcnt(0)
	v_dot4c_i32_i8_e32 v14, v12, v13
	s_nop 2
	flat_store_dword v[8:9], v14 offset:136
	flat_load_dword v12, v[4:5] offset:16
	flat_load_dword v13, v[6:7] offset:12
	s_waitcnt vmcnt(0) lgkmcnt(0)
	v_dot4c_i32_i8_e32 v15, v12, v13
	s_nop 2
	flat_store_dword v[8:9], v15 offset:140
	flat_load_dword v12, v[4:5] offset:20
	flat_load_dword v13, v[6:7]
	s_waitcnt vmcnt(0) lgkmcnt(0)
	v_dot4c_i32_i8_e32 v16, v12, v13
	s_nop 2
	flat_store_dword v[8:9], v16 offset:160
	flat_load_dword v12, v[4:5] offset:20
	flat_load_dword v13, v[6:7] offset:4
	s_waitcnt vmcnt(0) lgkmcnt(0)
	v_dot4c_i32_i8_e32 v17, v12, v13
	s_nop 2
	flat_store_dword v[8:9], v17 offset:164
	flat_load_dword v12, v[4:5] offset:20
	flat_load_dword v13, v[6:7] offset:8
	;; [unrolled: 6-line block ×3, first 2 shown]
	s_waitcnt vmcnt(0) lgkmcnt(0)
	v_dot4c_i32_i8_e32 v19, v12, v13
	s_nop 2
	flat_store_dword v[8:9], v19 offset:172
	flat_load_dword v20, v[4:5] offset:24
	flat_load_dword v21, v[6:7]
	flat_load_dwordx4 v[12:15], v[8:9] offset:192
	s_nop 0
	flat_load_dwordx4 v[16:19], v[8:9] offset:224
	s_waitcnt vmcnt(0) lgkmcnt(0)
	v_dot4c_i32_i8_e32 v12, v20, v21
	s_nop 2
	flat_store_dword v[8:9], v12 offset:192
	flat_load_dword v12, v[4:5] offset:24
	s_nop 0
	flat_load_dword v20, v[6:7] offset:4
	s_waitcnt vmcnt(0) lgkmcnt(0)
	v_dot4c_i32_i8_e32 v13, v12, v20
	s_nop 2
	flat_store_dword v[8:9], v13 offset:196
	flat_load_dword v12, v[4:5] offset:24
	s_nop 0
	flat_load_dword v13, v[6:7] offset:8
	s_waitcnt vmcnt(0) lgkmcnt(0)
	v_dot4c_i32_i8_e32 v14, v12, v13
	s_nop 2
	flat_store_dword v[8:9], v14 offset:200
	flat_load_dword v12, v[4:5] offset:24
	flat_load_dword v13, v[6:7] offset:12
	s_waitcnt vmcnt(0) lgkmcnt(0)
	v_dot4c_i32_i8_e32 v15, v12, v13
	s_nop 2
	flat_store_dword v[8:9], v15 offset:204
	flat_load_dword v12, v[4:5] offset:28
	flat_load_dword v13, v[6:7]
	s_waitcnt vmcnt(0) lgkmcnt(0)
	v_dot4c_i32_i8_e32 v16, v12, v13
	s_nop 2
	flat_store_dword v[8:9], v16 offset:224
	flat_load_dword v12, v[4:5] offset:28
	flat_load_dword v13, v[6:7] offset:4
	s_waitcnt vmcnt(0) lgkmcnt(0)
	v_dot4c_i32_i8_e32 v17, v12, v13
	s_nop 2
	flat_store_dword v[8:9], v17 offset:228
	flat_load_dword v12, v[4:5] offset:28
	flat_load_dword v13, v[6:7] offset:8
	;; [unrolled: 6-line block ×3, first 2 shown]
	s_waitcnt vmcnt(0) lgkmcnt(0)
	v_dot4c_i32_i8_e32 v19, v12, v13
	s_nop 2
	flat_store_dword v[8:9], v19 offset:236
	flat_load_dword v14, v[0:1] offset:48
	flat_load_dwordx2 v[12:13], v[10:11]
	s_waitcnt vmcnt(0) lgkmcnt(0)
	v_ashrrev_i32_e32 v15, 31, v14
	v_add_co_u32_e32 v12, vcc, v12, v14
	v_addc_co_u32_e32 v13, vcc, v13, v15, vcc
	v_add_co_u32_e32 v16, vcc, s4, v12
	v_addc_co_u32_e32 v17, vcc, 0, v13, vcc
	flat_load_dwordx4 v[12:15], v[16:17] offset:2048
	flat_load_dword v20, v[6:7] offset:16
	s_waitcnt vmcnt(0) lgkmcnt(0)
	flat_store_dwordx4 v[6:7], v[12:15]
	flat_load_dword v21, v[4:5] offset:16
	s_nop 0
	flat_load_dwordx4 v[12:15], v[8:9] offset:144
	flat_load_dwordx4 v[16:19], v[8:9] offset:176
	s_waitcnt vmcnt(0) lgkmcnt(0)
	v_dot4c_i32_i8_e32 v12, v21, v20
	s_nop 2
	flat_store_dword v[8:9], v12 offset:144
	flat_load_dword v12, v[4:5] offset:16
	s_nop 0
	flat_load_dword v20, v[6:7] offset:20
	s_waitcnt vmcnt(0) lgkmcnt(0)
	v_dot4c_i32_i8_e32 v13, v12, v20
	s_nop 2
	flat_store_dword v[8:9], v13 offset:148
	flat_load_dword v12, v[4:5] offset:16
	s_nop 0
	flat_load_dword v13, v[6:7] offset:24
	s_waitcnt vmcnt(0) lgkmcnt(0)
	v_dot4c_i32_i8_e32 v14, v12, v13
	s_nop 2
	flat_store_dword v[8:9], v14 offset:152
	flat_load_dword v12, v[4:5] offset:16
	flat_load_dword v13, v[6:7] offset:28
	s_waitcnt vmcnt(0) lgkmcnt(0)
	v_dot4c_i32_i8_e32 v15, v12, v13
	s_nop 2
	flat_store_dword v[8:9], v15 offset:156
	flat_load_dword v12, v[4:5] offset:20
	;; [unrolled: 6-line block ×6, first 2 shown]
	flat_load_dword v21, v[6:7] offset:16
	flat_load_dwordx4 v[12:15], v[8:9] offset:208
	s_nop 0
	flat_load_dwordx4 v[16:19], v[8:9] offset:240
	s_waitcnt vmcnt(0) lgkmcnt(0)
	v_dot4c_i32_i8_e32 v12, v20, v21
	s_nop 2
	flat_store_dword v[8:9], v12 offset:208
	flat_load_dword v12, v[4:5] offset:24
	s_nop 0
	flat_load_dword v20, v[6:7] offset:20
	s_waitcnt vmcnt(0) lgkmcnt(0)
	v_dot4c_i32_i8_e32 v13, v12, v20
	s_nop 2
	flat_store_dword v[8:9], v13 offset:212
	flat_load_dword v12, v[4:5] offset:24
	s_nop 0
	flat_load_dword v13, v[6:7] offset:24
	s_waitcnt vmcnt(0) lgkmcnt(0)
	v_dot4c_i32_i8_e32 v14, v12, v13
	s_nop 2
	flat_store_dword v[8:9], v14 offset:216
	flat_load_dword v12, v[4:5] offset:24
	flat_load_dword v13, v[6:7] offset:28
	s_waitcnt vmcnt(0) lgkmcnt(0)
	v_dot4c_i32_i8_e32 v15, v12, v13
	s_nop 2
	flat_store_dword v[8:9], v15 offset:220
	flat_load_dword v12, v[4:5] offset:28
	;; [unrolled: 6-line block ×6, first 2 shown]
	flat_load_dwordx2 v[12:13], v[10:11]
	s_waitcnt vmcnt(0) lgkmcnt(0)
	v_ashrrev_i32_e32 v15, 31, v14
	v_add_co_u32_e32 v12, vcc, v12, v14
	v_addc_co_u32_e32 v13, vcc, v13, v15, vcc
	v_add_co_u32_e32 v12, vcc, s4, v12
	v_addc_co_u32_e32 v13, vcc, 0, v13, vcc
	flat_load_dwordx4 v[12:15], v[12:13] offset:2304
	s_waitcnt vmcnt(0) lgkmcnt(0)
	flat_store_dwordx4 v[6:7], v[12:15] offset:16
	flat_load_dword v14, v[0:1] offset:16
	s_nop 0
	flat_load_dwordx2 v[12:13], v[2:3]
	s_waitcnt vmcnt(0) lgkmcnt(0)
	v_ashrrev_i32_e32 v15, 31, v14
	v_add_co_u32_e32 v12, vcc, v12, v14
	v_addc_co_u32_e32 v13, vcc, v13, v15, vcc
	v_add_co_u32_e32 v16, vcc, s4, v12
	v_addc_co_u32_e32 v17, vcc, 0, v13, vcc
	flat_load_dwordx4 v[12:15], v[16:17] offset:2304
	flat_load_dword v20, v[4:5]
	s_waitcnt vmcnt(0) lgkmcnt(0)
	flat_store_dwordx4 v[4:5], v[12:15] offset:16
	flat_load_dword v21, v[6:7]
	flat_load_dwordx4 v[16:19], v[8:9]
	s_nop 0
	flat_load_dwordx4 v[12:15], v[8:9] offset:16
	s_waitcnt vmcnt(0) lgkmcnt(0)
	v_dot4c_i32_i8_e32 v16, v20, v21
	s_nop 2
	flat_store_dword v[8:9], v16
	flat_load_dword v16, v[4:5]
	s_nop 0
	flat_load_dword v20, v[6:7] offset:4
	s_waitcnt vmcnt(0) lgkmcnt(0)
	v_dot4c_i32_i8_e32 v17, v16, v20
	s_nop 2
	flat_store_dword v[8:9], v17 offset:4
	flat_load_dword v16, v[4:5]
	s_nop 0
	flat_load_dword v17, v[6:7] offset:8
	s_waitcnt vmcnt(0) lgkmcnt(0)
	v_dot4c_i32_i8_e32 v18, v16, v17
	s_nop 2
	flat_store_dword v[8:9], v18 offset:8
	flat_load_dword v16, v[4:5]
	flat_load_dword v17, v[6:7] offset:12
	s_waitcnt vmcnt(0) lgkmcnt(0)
	v_dot4c_i32_i8_e32 v19, v16, v17
	s_nop 2
	flat_store_dword v[8:9], v19 offset:12
	flat_load_dword v24, v[4:5] offset:4
	flat_load_dword v25, v[6:7]
	s_nop 0
	flat_load_dwordx4 v[16:19], v[8:9] offset:32
	flat_load_dwordx4 v[20:23], v[8:9] offset:48
	s_waitcnt vmcnt(0) lgkmcnt(0)
	v_dot4c_i32_i8_e32 v16, v24, v25
	s_nop 2
	flat_store_dword v[8:9], v16 offset:32
	flat_load_dword v16, v[4:5] offset:4
	s_nop 0
	flat_load_dword v24, v[6:7] offset:4
	s_waitcnt vmcnt(0) lgkmcnt(0)
	v_dot4c_i32_i8_e32 v17, v16, v24
	s_nop 2
	flat_store_dword v[8:9], v17 offset:36
	flat_load_dword v16, v[4:5] offset:4
	s_nop 0
	flat_load_dword v17, v[6:7] offset:8
	s_waitcnt vmcnt(0) lgkmcnt(0)
	v_dot4c_i32_i8_e32 v18, v16, v17
	s_nop 2
	flat_store_dword v[8:9], v18 offset:40
	flat_load_dword v16, v[4:5] offset:4
	flat_load_dword v17, v[6:7] offset:12
	s_waitcnt vmcnt(0) lgkmcnt(0)
	v_dot4c_i32_i8_e32 v19, v16, v17
	s_nop 2
	flat_store_dword v[8:9], v19 offset:44
	flat_load_dword v28, v[4:5] offset:8
	flat_load_dword v29, v[6:7]
	s_nop 0
	flat_load_dwordx4 v[16:19], v[8:9] offset:64
	flat_load_dwordx4 v[24:27], v[8:9] offset:80
	s_waitcnt vmcnt(0) lgkmcnt(0)
	v_dot4c_i32_i8_e32 v16, v28, v29
	s_nop 2
	flat_store_dword v[8:9], v16 offset:64
	flat_load_dword v16, v[4:5] offset:8
	s_nop 0
	flat_load_dword v28, v[6:7] offset:4
	s_waitcnt vmcnt(0) lgkmcnt(0)
	v_dot4c_i32_i8_e32 v17, v16, v28
	s_nop 2
	flat_store_dword v[8:9], v17 offset:68
	flat_load_dword v16, v[4:5] offset:8
	s_nop 0
	flat_load_dword v17, v[6:7] offset:8
	s_waitcnt vmcnt(0) lgkmcnt(0)
	v_dot4c_i32_i8_e32 v18, v16, v17
	s_nop 2
	flat_store_dword v[8:9], v18 offset:72
	flat_load_dword v16, v[4:5] offset:8
	;; [unrolled: 29-line block ×3, first 2 shown]
	flat_load_dword v17, v[6:7] offset:12
	s_waitcnt vmcnt(0) lgkmcnt(0)
	v_dot4c_i32_i8_e32 v19, v16, v17
	s_nop 2
	flat_store_dword v[8:9], v19 offset:108
	flat_load_dword v16, v[4:5]
	flat_load_dword v17, v[6:7] offset:16
	s_waitcnt vmcnt(0) lgkmcnt(0)
	v_dot4c_i32_i8_e32 v12, v16, v17
	s_nop 2
	flat_store_dword v[8:9], v12 offset:16
	flat_load_dword v12, v[4:5]
	s_nop 0
	flat_load_dword v16, v[6:7] offset:20
	s_waitcnt vmcnt(0) lgkmcnt(0)
	v_dot4c_i32_i8_e32 v13, v12, v16
	s_nop 2
	flat_store_dword v[8:9], v13 offset:20
	flat_load_dword v12, v[4:5]
	s_nop 0
	flat_load_dword v13, v[6:7] offset:24
	s_waitcnt vmcnt(0) lgkmcnt(0)
	v_dot4c_i32_i8_e32 v14, v12, v13
	s_nop 2
	flat_store_dword v[8:9], v14 offset:24
	flat_load_dword v12, v[4:5]
	flat_load_dword v13, v[6:7] offset:28
	s_waitcnt vmcnt(0) lgkmcnt(0)
	v_dot4c_i32_i8_e32 v15, v12, v13
	s_nop 2
	flat_store_dword v[8:9], v15 offset:28
	flat_load_dword v12, v[4:5] offset:4
	flat_load_dword v13, v[6:7] offset:16
	s_waitcnt vmcnt(0) lgkmcnt(0)
	v_dot4c_i32_i8_e32 v20, v12, v13
	s_nop 2
	flat_store_dword v[8:9], v20 offset:48
	flat_load_dword v12, v[4:5] offset:4
	;; [unrolled: 6-line block ×13, first 2 shown]
	flat_load_dwordx2 v[12:13], v[2:3]
	s_waitcnt vmcnt(0) lgkmcnt(0)
	v_ashrrev_i32_e32 v15, 31, v14
	v_add_co_u32_e32 v12, vcc, v12, v14
	v_addc_co_u32_e32 v13, vcc, v13, v15, vcc
	v_add_co_u32_e32 v16, vcc, s4, v12
	v_addc_co_u32_e32 v17, vcc, 0, v13, vcc
	flat_load_dwordx4 v[12:15], v[16:17] offset:2560
	flat_load_dword v20, v[4:5] offset:16
	s_waitcnt vmcnt(0) lgkmcnt(0)
	flat_store_dwordx4 v[4:5], v[12:15]
	flat_load_dword v21, v[6:7]
	s_nop 0
	flat_load_dwordx4 v[12:15], v[8:9] offset:128
	flat_load_dwordx4 v[16:19], v[8:9] offset:160
	s_waitcnt vmcnt(0) lgkmcnt(0)
	v_dot4c_i32_i8_e32 v12, v20, v21
	s_nop 2
	flat_store_dword v[8:9], v12 offset:128
	flat_load_dword v12, v[4:5] offset:16
	s_nop 0
	flat_load_dword v20, v[6:7] offset:4
	s_waitcnt vmcnt(0) lgkmcnt(0)
	v_dot4c_i32_i8_e32 v13, v12, v20
	s_nop 2
	flat_store_dword v[8:9], v13 offset:132
	flat_load_dword v12, v[4:5] offset:16
	s_nop 0
	flat_load_dword v13, v[6:7] offset:8
	s_waitcnt vmcnt(0) lgkmcnt(0)
	v_dot4c_i32_i8_e32 v14, v12, v13
	s_nop 2
	flat_store_dword v[8:9], v14 offset:136
	flat_load_dword v12, v[4:5] offset:16
	flat_load_dword v13, v[6:7] offset:12
	s_waitcnt vmcnt(0) lgkmcnt(0)
	v_dot4c_i32_i8_e32 v15, v12, v13
	s_nop 2
	flat_store_dword v[8:9], v15 offset:140
	flat_load_dword v12, v[4:5] offset:20
	flat_load_dword v13, v[6:7]
	s_waitcnt vmcnt(0) lgkmcnt(0)
	v_dot4c_i32_i8_e32 v16, v12, v13
	s_nop 2
	flat_store_dword v[8:9], v16 offset:160
	flat_load_dword v12, v[4:5] offset:20
	flat_load_dword v13, v[6:7] offset:4
	s_waitcnt vmcnt(0) lgkmcnt(0)
	v_dot4c_i32_i8_e32 v17, v12, v13
	s_nop 2
	flat_store_dword v[8:9], v17 offset:164
	flat_load_dword v12, v[4:5] offset:20
	flat_load_dword v13, v[6:7] offset:8
	;; [unrolled: 6-line block ×3, first 2 shown]
	s_waitcnt vmcnt(0) lgkmcnt(0)
	v_dot4c_i32_i8_e32 v19, v12, v13
	s_nop 2
	flat_store_dword v[8:9], v19 offset:172
	flat_load_dword v20, v[4:5] offset:24
	flat_load_dword v21, v[6:7]
	flat_load_dwordx4 v[12:15], v[8:9] offset:192
	s_nop 0
	flat_load_dwordx4 v[16:19], v[8:9] offset:224
	s_waitcnt vmcnt(0) lgkmcnt(0)
	v_dot4c_i32_i8_e32 v12, v20, v21
	s_nop 2
	flat_store_dword v[8:9], v12 offset:192
	flat_load_dword v12, v[4:5] offset:24
	s_nop 0
	flat_load_dword v20, v[6:7] offset:4
	s_waitcnt vmcnt(0) lgkmcnt(0)
	v_dot4c_i32_i8_e32 v13, v12, v20
	s_nop 2
	flat_store_dword v[8:9], v13 offset:196
	flat_load_dword v12, v[4:5] offset:24
	s_nop 0
	flat_load_dword v13, v[6:7] offset:8
	s_waitcnt vmcnt(0) lgkmcnt(0)
	v_dot4c_i32_i8_e32 v14, v12, v13
	s_nop 2
	flat_store_dword v[8:9], v14 offset:200
	flat_load_dword v12, v[4:5] offset:24
	flat_load_dword v13, v[6:7] offset:12
	s_waitcnt vmcnt(0) lgkmcnt(0)
	v_dot4c_i32_i8_e32 v15, v12, v13
	s_nop 2
	flat_store_dword v[8:9], v15 offset:204
	flat_load_dword v12, v[4:5] offset:28
	flat_load_dword v13, v[6:7]
	s_waitcnt vmcnt(0) lgkmcnt(0)
	v_dot4c_i32_i8_e32 v16, v12, v13
	s_nop 2
	flat_store_dword v[8:9], v16 offset:224
	flat_load_dword v12, v[4:5] offset:28
	flat_load_dword v13, v[6:7] offset:4
	s_waitcnt vmcnt(0) lgkmcnt(0)
	v_dot4c_i32_i8_e32 v17, v12, v13
	s_nop 2
	flat_store_dword v[8:9], v17 offset:228
	flat_load_dword v12, v[4:5] offset:28
	flat_load_dword v13, v[6:7] offset:8
	;; [unrolled: 6-line block ×3, first 2 shown]
	s_waitcnt vmcnt(0) lgkmcnt(0)
	v_dot4c_i32_i8_e32 v19, v12, v13
	s_nop 2
	flat_store_dword v[8:9], v19 offset:236
	flat_load_dword v14, v[0:1] offset:48
	flat_load_dwordx2 v[12:13], v[10:11]
	s_waitcnt vmcnt(0) lgkmcnt(0)
	v_ashrrev_i32_e32 v15, 31, v14
	v_add_co_u32_e32 v12, vcc, v12, v14
	v_addc_co_u32_e32 v13, vcc, v13, v15, vcc
	v_add_co_u32_e32 v16, vcc, s4, v12
	v_addc_co_u32_e32 v17, vcc, 0, v13, vcc
	flat_load_dwordx4 v[12:15], v[16:17] offset:2560
	flat_load_dword v20, v[6:7] offset:16
	s_waitcnt vmcnt(0) lgkmcnt(0)
	flat_store_dwordx4 v[6:7], v[12:15]
	flat_load_dword v21, v[4:5] offset:16
	s_nop 0
	flat_load_dwordx4 v[12:15], v[8:9] offset:144
	flat_load_dwordx4 v[16:19], v[8:9] offset:176
	s_waitcnt vmcnt(0) lgkmcnt(0)
	v_dot4c_i32_i8_e32 v12, v21, v20
	s_nop 2
	flat_store_dword v[8:9], v12 offset:144
	flat_load_dword v12, v[4:5] offset:16
	s_nop 0
	flat_load_dword v20, v[6:7] offset:20
	s_waitcnt vmcnt(0) lgkmcnt(0)
	v_dot4c_i32_i8_e32 v13, v12, v20
	s_nop 2
	flat_store_dword v[8:9], v13 offset:148
	flat_load_dword v12, v[4:5] offset:16
	s_nop 0
	flat_load_dword v13, v[6:7] offset:24
	s_waitcnt vmcnt(0) lgkmcnt(0)
	v_dot4c_i32_i8_e32 v14, v12, v13
	s_nop 2
	flat_store_dword v[8:9], v14 offset:152
	flat_load_dword v12, v[4:5] offset:16
	flat_load_dword v13, v[6:7] offset:28
	s_waitcnt vmcnt(0) lgkmcnt(0)
	v_dot4c_i32_i8_e32 v15, v12, v13
	s_nop 2
	flat_store_dword v[8:9], v15 offset:156
	flat_load_dword v12, v[4:5] offset:20
	;; [unrolled: 6-line block ×6, first 2 shown]
	flat_load_dword v21, v[6:7] offset:16
	flat_load_dwordx4 v[12:15], v[8:9] offset:208
	s_nop 0
	flat_load_dwordx4 v[16:19], v[8:9] offset:240
	s_waitcnt vmcnt(0) lgkmcnt(0)
	v_dot4c_i32_i8_e32 v12, v20, v21
	s_nop 2
	flat_store_dword v[8:9], v12 offset:208
	flat_load_dword v12, v[4:5] offset:24
	s_nop 0
	flat_load_dword v20, v[6:7] offset:20
	s_waitcnt vmcnt(0) lgkmcnt(0)
	v_dot4c_i32_i8_e32 v13, v12, v20
	s_nop 2
	flat_store_dword v[8:9], v13 offset:212
	flat_load_dword v12, v[4:5] offset:24
	s_nop 0
	flat_load_dword v13, v[6:7] offset:24
	s_waitcnt vmcnt(0) lgkmcnt(0)
	v_dot4c_i32_i8_e32 v14, v12, v13
	s_nop 2
	flat_store_dword v[8:9], v14 offset:216
	flat_load_dword v12, v[4:5] offset:24
	flat_load_dword v13, v[6:7] offset:28
	s_waitcnt vmcnt(0) lgkmcnt(0)
	v_dot4c_i32_i8_e32 v15, v12, v13
	s_nop 2
	flat_store_dword v[8:9], v15 offset:220
	flat_load_dword v12, v[4:5] offset:28
	flat_load_dword v13, v[6:7] offset:16
	s_waitcnt vmcnt(0) lgkmcnt(0)
	v_dot4c_i32_i8_e32 v16, v12, v13
	s_nop 2
	flat_store_dword v[8:9], v16 offset:240
	flat_load_dword v12, v[4:5] offset:28
	flat_load_dword v13, v[6:7] offset:20
	s_waitcnt vmcnt(0) lgkmcnt(0)
	v_dot4c_i32_i8_e32 v17, v12, v13
	s_nop 2
	flat_store_dword v[8:9], v17 offset:244
	flat_load_dword v12, v[4:5] offset:28
	flat_load_dword v13, v[6:7] offset:24
	s_waitcnt vmcnt(0) lgkmcnt(0)
	v_dot4c_i32_i8_e32 v18, v12, v13
	s_nop 2
	flat_store_dword v[8:9], v18 offset:248
	flat_load_dword v12, v[4:5] offset:28
	flat_load_dword v13, v[6:7] offset:28
	s_waitcnt vmcnt(0) lgkmcnt(0)
	v_dot4c_i32_i8_e32 v19, v12, v13
	s_nop 2
	flat_store_dword v[8:9], v19 offset:252
	flat_load_dword v14, v[0:1] offset:48
	flat_load_dwordx2 v[12:13], v[10:11]
	s_waitcnt vmcnt(0) lgkmcnt(0)
	v_ashrrev_i32_e32 v15, 31, v14
	v_add_co_u32_e32 v12, vcc, v12, v14
	v_addc_co_u32_e32 v13, vcc, v13, v15, vcc
	v_add_co_u32_e32 v12, vcc, s4, v12
	v_addc_co_u32_e32 v13, vcc, 0, v13, vcc
	flat_load_dwordx4 v[12:15], v[12:13] offset:2816
	s_waitcnt vmcnt(0) lgkmcnt(0)
	flat_store_dwordx4 v[6:7], v[12:15] offset:16
	flat_load_dword v14, v[0:1] offset:16
	s_nop 0
	flat_load_dwordx2 v[12:13], v[2:3]
	s_waitcnt vmcnt(0) lgkmcnt(0)
	v_ashrrev_i32_e32 v15, 31, v14
	v_add_co_u32_e32 v12, vcc, v12, v14
	v_addc_co_u32_e32 v13, vcc, v13, v15, vcc
	v_add_co_u32_e32 v16, vcc, s4, v12
	v_addc_co_u32_e32 v17, vcc, 0, v13, vcc
	flat_load_dwordx4 v[12:15], v[16:17] offset:2816
	flat_load_dword v18, v[4:5]
	s_waitcnt vmcnt(0) lgkmcnt(0)
	flat_store_dwordx4 v[4:5], v[12:15] offset:16
	flat_load_dword v16, v[6:7]
	s_nop 0
	flat_load_dwordx4 v[12:15], v[8:9]
	s_waitcnt vmcnt(0) lgkmcnt(0)
	v_dot4c_i32_i8_e32 v12, v18, v16
	s_nop 2
	flat_store_dword v[8:9], v12
	flat_load_dword v12, v[4:5]
	s_nop 0
	flat_load_dword v16, v[6:7] offset:4
	s_waitcnt vmcnt(0) lgkmcnt(0)
	v_dot4c_i32_i8_e32 v13, v12, v16
	s_nop 2
	flat_store_dword v[8:9], v13 offset:4
	flat_load_dword v12, v[4:5]
	s_nop 0
	flat_load_dword v13, v[6:7] offset:8
	s_waitcnt vmcnt(0) lgkmcnt(0)
	v_dot4c_i32_i8_e32 v14, v12, v13
	s_nop 2
	flat_store_dword v[8:9], v14 offset:8
	flat_load_dword v12, v[4:5]
	flat_load_dword v13, v[6:7] offset:12
	flat_load_dwordx4 v[16:19], v[8:9] offset:32
	s_waitcnt vmcnt(0) lgkmcnt(0)
	v_dot4c_i32_i8_e32 v15, v12, v13
	s_nop 2
	flat_store_dword v[8:9], v15 offset:12
	flat_load_dword v12, v[4:5] offset:4
	flat_load_dword v13, v[6:7]
	s_waitcnt vmcnt(0) lgkmcnt(0)
	v_dot4c_i32_i8_e32 v16, v12, v13
	s_nop 2
	flat_store_dword v[8:9], v16 offset:32
	flat_load_dword v12, v[4:5] offset:4
	flat_load_dword v13, v[6:7] offset:4
	s_waitcnt vmcnt(0) lgkmcnt(0)
	v_dot4c_i32_i8_e32 v17, v12, v13
	s_nop 2
	flat_store_dword v[8:9], v17 offset:36
	flat_load_dword v12, v[4:5] offset:4
	flat_load_dword v13, v[6:7] offset:8
	;; [unrolled: 6-line block ×3, first 2 shown]
	flat_load_dwordx4 v[12:15], v[8:9] offset:64
	s_waitcnt vmcnt(0) lgkmcnt(0)
	v_dot4c_i32_i8_e32 v19, v16, v17
	s_nop 2
	flat_store_dword v[8:9], v19 offset:44
	flat_load_dword v16, v[4:5] offset:8
	flat_load_dword v17, v[6:7]
	s_waitcnt vmcnt(0) lgkmcnt(0)
	v_dot4c_i32_i8_e32 v12, v16, v17
	s_nop 2
	flat_store_dword v[8:9], v12 offset:64
	flat_load_dword v12, v[4:5] offset:8
	s_nop 0
	flat_load_dword v16, v[6:7] offset:4
	s_waitcnt vmcnt(0) lgkmcnt(0)
	v_dot4c_i32_i8_e32 v13, v12, v16
	s_nop 2
	flat_store_dword v[8:9], v13 offset:68
	flat_load_dword v12, v[4:5] offset:8
	s_nop 0
	flat_load_dword v13, v[6:7] offset:8
	s_waitcnt vmcnt(0) lgkmcnt(0)
	v_dot4c_i32_i8_e32 v14, v12, v13
	s_nop 2
	flat_store_dword v[8:9], v14 offset:72
	flat_load_dword v12, v[4:5] offset:8
	flat_load_dword v13, v[6:7] offset:12
	flat_load_dwordx4 v[16:19], v[8:9] offset:96
	s_waitcnt vmcnt(0) lgkmcnt(0)
	v_dot4c_i32_i8_e32 v15, v12, v13
	s_nop 2
	flat_store_dword v[8:9], v15 offset:76
	flat_load_dword v12, v[4:5] offset:12
	flat_load_dword v13, v[6:7]
	s_waitcnt vmcnt(0) lgkmcnt(0)
	v_dot4c_i32_i8_e32 v16, v12, v13
	s_nop 2
	flat_store_dword v[8:9], v16 offset:96
	flat_load_dword v12, v[4:5] offset:12
	flat_load_dword v13, v[6:7] offset:4
	s_waitcnt vmcnt(0) lgkmcnt(0)
	v_dot4c_i32_i8_e32 v17, v12, v13
	s_nop 2
	flat_store_dword v[8:9], v17 offset:100
	flat_load_dword v12, v[4:5] offset:12
	flat_load_dword v13, v[6:7] offset:8
	;; [unrolled: 6-line block ×3, first 2 shown]
	s_waitcnt vmcnt(0) lgkmcnt(0)
	v_dot4c_i32_i8_e32 v19, v12, v13
	s_nop 2
	flat_store_dword v[8:9], v19 offset:108
	flat_load_dword v16, v[4:5]
	flat_load_dword v17, v[6:7] offset:16
	flat_load_dwordx4 v[12:15], v[8:9] offset:16
	s_waitcnt vmcnt(0) lgkmcnt(0)
	v_dot4c_i32_i8_e32 v12, v16, v17
	s_nop 2
	flat_store_dword v[8:9], v12 offset:16
	flat_load_dword v12, v[4:5]
	s_nop 0
	flat_load_dword v16, v[6:7] offset:20
	s_waitcnt vmcnt(0) lgkmcnt(0)
	v_dot4c_i32_i8_e32 v13, v12, v16
	s_nop 2
	flat_store_dword v[8:9], v13 offset:20
	flat_load_dword v12, v[4:5]
	s_nop 0
	flat_load_dword v13, v[6:7] offset:24
	s_waitcnt vmcnt(0) lgkmcnt(0)
	v_dot4c_i32_i8_e32 v14, v12, v13
	s_nop 2
	flat_store_dword v[8:9], v14 offset:24
	flat_load_dword v12, v[4:5]
	flat_load_dword v13, v[6:7] offset:28
	flat_load_dwordx4 v[16:19], v[8:9] offset:48
	s_waitcnt vmcnt(0) lgkmcnt(0)
	v_dot4c_i32_i8_e32 v15, v12, v13
	s_nop 2
	flat_store_dword v[8:9], v15 offset:28
	flat_load_dword v12, v[4:5] offset:4
	flat_load_dword v13, v[6:7] offset:16
	s_waitcnt vmcnt(0) lgkmcnt(0)
	v_dot4c_i32_i8_e32 v16, v12, v13
	s_nop 2
	flat_store_dword v[8:9], v16 offset:48
	flat_load_dword v12, v[4:5] offset:4
	flat_load_dword v13, v[6:7] offset:20
	;; [unrolled: 6-line block ×4, first 2 shown]
	flat_load_dwordx4 v[12:15], v[8:9] offset:80
	s_waitcnt vmcnt(0) lgkmcnt(0)
	v_dot4c_i32_i8_e32 v19, v16, v17
	s_nop 2
	flat_store_dword v[8:9], v19 offset:60
	flat_load_dword v16, v[4:5] offset:8
	flat_load_dword v17, v[6:7] offset:16
	s_waitcnt vmcnt(0) lgkmcnt(0)
	v_dot4c_i32_i8_e32 v12, v16, v17
	s_nop 2
	flat_store_dword v[8:9], v12 offset:80
	flat_load_dword v12, v[4:5] offset:8
	s_nop 0
	flat_load_dword v16, v[6:7] offset:20
	s_waitcnt vmcnt(0) lgkmcnt(0)
	v_dot4c_i32_i8_e32 v13, v12, v16
	s_nop 2
	flat_store_dword v[8:9], v13 offset:84
	flat_load_dword v12, v[4:5] offset:8
	s_nop 0
	flat_load_dword v13, v[6:7] offset:24
	s_waitcnt vmcnt(0) lgkmcnt(0)
	v_dot4c_i32_i8_e32 v14, v12, v13
	s_nop 2
	flat_store_dword v[8:9], v14 offset:88
	flat_load_dword v12, v[4:5] offset:8
	flat_load_dword v13, v[6:7] offset:28
	flat_load_dwordx4 v[16:19], v[8:9] offset:112
	s_waitcnt vmcnt(0) lgkmcnt(0)
	v_dot4c_i32_i8_e32 v15, v12, v13
	s_nop 2
	flat_store_dword v[8:9], v15 offset:92
	flat_load_dword v12, v[4:5] offset:12
	flat_load_dword v13, v[6:7] offset:16
	s_waitcnt vmcnt(0) lgkmcnt(0)
	v_dot4c_i32_i8_e32 v16, v12, v13
	s_nop 2
	flat_store_dword v[8:9], v16 offset:112
	flat_load_dword v12, v[4:5] offset:12
	flat_load_dword v13, v[6:7] offset:20
	;; [unrolled: 6-line block ×4, first 2 shown]
	s_waitcnt vmcnt(0) lgkmcnt(0)
	v_dot4c_i32_i8_e32 v19, v12, v13
	s_nop 2
	flat_store_dword v[8:9], v19 offset:124
	flat_load_dword v14, v[0:1] offset:16
	flat_load_dwordx2 v[12:13], v[2:3]
	s_waitcnt vmcnt(0) lgkmcnt(0)
	v_ashrrev_i32_e32 v15, 31, v14
	v_add_co_u32_e32 v12, vcc, v12, v14
	v_addc_co_u32_e32 v13, vcc, v13, v15, vcc
	v_add_co_u32_e32 v16, vcc, s4, v12
	v_addc_co_u32_e32 v17, vcc, 0, v13, vcc
	flat_load_dwordx4 v[12:15], v[16:17] offset:3072
	flat_load_dword v20, v[4:5] offset:16
	s_waitcnt vmcnt(0) lgkmcnt(0)
	flat_store_dwordx4 v[4:5], v[12:15]
	flat_load_dword v21, v[6:7]
	s_nop 0
	flat_load_dwordx4 v[12:15], v[8:9] offset:128
	flat_load_dwordx4 v[16:19], v[8:9] offset:160
	s_waitcnt vmcnt(0) lgkmcnt(0)
	v_dot4c_i32_i8_e32 v12, v20, v21
	s_nop 2
	flat_store_dword v[8:9], v12 offset:128
	flat_load_dword v12, v[4:5] offset:16
	s_nop 0
	flat_load_dword v20, v[6:7] offset:4
	s_waitcnt vmcnt(0) lgkmcnt(0)
	v_dot4c_i32_i8_e32 v13, v12, v20
	s_nop 2
	flat_store_dword v[8:9], v13 offset:132
	flat_load_dword v12, v[4:5] offset:16
	s_nop 0
	flat_load_dword v13, v[6:7] offset:8
	s_waitcnt vmcnt(0) lgkmcnt(0)
	v_dot4c_i32_i8_e32 v14, v12, v13
	s_nop 2
	flat_store_dword v[8:9], v14 offset:136
	flat_load_dword v12, v[4:5] offset:16
	flat_load_dword v13, v[6:7] offset:12
	s_waitcnt vmcnt(0) lgkmcnt(0)
	v_dot4c_i32_i8_e32 v15, v12, v13
	s_nop 2
	flat_store_dword v[8:9], v15 offset:140
	flat_load_dword v12, v[4:5] offset:20
	flat_load_dword v13, v[6:7]
	s_waitcnt vmcnt(0) lgkmcnt(0)
	v_dot4c_i32_i8_e32 v16, v12, v13
	s_nop 2
	flat_store_dword v[8:9], v16 offset:160
	flat_load_dword v12, v[4:5] offset:20
	flat_load_dword v13, v[6:7] offset:4
	s_waitcnt vmcnt(0) lgkmcnt(0)
	v_dot4c_i32_i8_e32 v17, v12, v13
	s_nop 2
	flat_store_dword v[8:9], v17 offset:164
	flat_load_dword v12, v[4:5] offset:20
	flat_load_dword v13, v[6:7] offset:8
	;; [unrolled: 6-line block ×3, first 2 shown]
	s_waitcnt vmcnt(0) lgkmcnt(0)
	v_dot4c_i32_i8_e32 v19, v12, v13
	s_nop 2
	flat_store_dword v[8:9], v19 offset:172
	flat_load_dword v20, v[4:5] offset:24
	flat_load_dword v21, v[6:7]
	flat_load_dwordx4 v[12:15], v[8:9] offset:192
	s_nop 0
	flat_load_dwordx4 v[16:19], v[8:9] offset:224
	s_waitcnt vmcnt(0) lgkmcnt(0)
	v_dot4c_i32_i8_e32 v12, v20, v21
	s_nop 2
	flat_store_dword v[8:9], v12 offset:192
	flat_load_dword v12, v[4:5] offset:24
	s_nop 0
	flat_load_dword v20, v[6:7] offset:4
	s_waitcnt vmcnt(0) lgkmcnt(0)
	v_dot4c_i32_i8_e32 v13, v12, v20
	s_nop 2
	flat_store_dword v[8:9], v13 offset:196
	flat_load_dword v12, v[4:5] offset:24
	s_nop 0
	flat_load_dword v13, v[6:7] offset:8
	s_waitcnt vmcnt(0) lgkmcnt(0)
	v_dot4c_i32_i8_e32 v14, v12, v13
	s_nop 2
	flat_store_dword v[8:9], v14 offset:200
	flat_load_dword v12, v[4:5] offset:24
	flat_load_dword v13, v[6:7] offset:12
	s_waitcnt vmcnt(0) lgkmcnt(0)
	v_dot4c_i32_i8_e32 v15, v12, v13
	s_nop 2
	flat_store_dword v[8:9], v15 offset:204
	flat_load_dword v12, v[4:5] offset:28
	flat_load_dword v13, v[6:7]
	s_waitcnt vmcnt(0) lgkmcnt(0)
	v_dot4c_i32_i8_e32 v16, v12, v13
	s_nop 2
	flat_store_dword v[8:9], v16 offset:224
	flat_load_dword v12, v[4:5] offset:28
	flat_load_dword v13, v[6:7] offset:4
	s_waitcnt vmcnt(0) lgkmcnt(0)
	v_dot4c_i32_i8_e32 v17, v12, v13
	s_nop 2
	flat_store_dword v[8:9], v17 offset:228
	flat_load_dword v12, v[4:5] offset:28
	flat_load_dword v13, v[6:7] offset:8
	;; [unrolled: 6-line block ×3, first 2 shown]
	s_waitcnt vmcnt(0) lgkmcnt(0)
	v_dot4c_i32_i8_e32 v19, v12, v13
	s_nop 2
	flat_store_dword v[8:9], v19 offset:236
	flat_load_dword v14, v[0:1] offset:48
	flat_load_dwordx2 v[12:13], v[10:11]
	s_waitcnt vmcnt(0) lgkmcnt(0)
	v_ashrrev_i32_e32 v15, 31, v14
	v_add_co_u32_e32 v12, vcc, v12, v14
	v_addc_co_u32_e32 v13, vcc, v13, v15, vcc
	v_add_co_u32_e32 v16, vcc, s4, v12
	v_addc_co_u32_e32 v17, vcc, 0, v13, vcc
	flat_load_dwordx4 v[12:15], v[16:17] offset:3072
	flat_load_dword v20, v[6:7] offset:16
	s_waitcnt vmcnt(0) lgkmcnt(0)
	flat_store_dwordx4 v[6:7], v[12:15]
	flat_load_dword v21, v[4:5] offset:16
	s_nop 0
	flat_load_dwordx4 v[12:15], v[8:9] offset:144
	flat_load_dwordx4 v[16:19], v[8:9] offset:176
	s_waitcnt vmcnt(0) lgkmcnt(0)
	v_dot4c_i32_i8_e32 v12, v21, v20
	s_nop 2
	flat_store_dword v[8:9], v12 offset:144
	flat_load_dword v12, v[4:5] offset:16
	s_nop 0
	flat_load_dword v20, v[6:7] offset:20
	s_waitcnt vmcnt(0) lgkmcnt(0)
	v_dot4c_i32_i8_e32 v13, v12, v20
	s_nop 2
	flat_store_dword v[8:9], v13 offset:148
	flat_load_dword v12, v[4:5] offset:16
	s_nop 0
	flat_load_dword v13, v[6:7] offset:24
	s_waitcnt vmcnt(0) lgkmcnt(0)
	v_dot4c_i32_i8_e32 v14, v12, v13
	s_nop 2
	flat_store_dword v[8:9], v14 offset:152
	flat_load_dword v12, v[4:5] offset:16
	flat_load_dword v13, v[6:7] offset:28
	s_waitcnt vmcnt(0) lgkmcnt(0)
	v_dot4c_i32_i8_e32 v15, v12, v13
	s_nop 2
	flat_store_dword v[8:9], v15 offset:156
	flat_load_dword v12, v[4:5] offset:20
	;; [unrolled: 6-line block ×6, first 2 shown]
	flat_load_dword v21, v[6:7] offset:16
	flat_load_dwordx4 v[12:15], v[8:9] offset:208
	s_nop 0
	flat_load_dwordx4 v[16:19], v[8:9] offset:240
	s_waitcnt vmcnt(0) lgkmcnt(0)
	v_dot4c_i32_i8_e32 v12, v20, v21
	s_nop 2
	flat_store_dword v[8:9], v12 offset:208
	flat_load_dword v12, v[4:5] offset:24
	s_nop 0
	flat_load_dword v20, v[6:7] offset:20
	s_waitcnt vmcnt(0) lgkmcnt(0)
	v_dot4c_i32_i8_e32 v13, v12, v20
	s_nop 2
	flat_store_dword v[8:9], v13 offset:212
	flat_load_dword v12, v[4:5] offset:24
	s_nop 0
	flat_load_dword v13, v[6:7] offset:24
	s_waitcnt vmcnt(0) lgkmcnt(0)
	v_dot4c_i32_i8_e32 v14, v12, v13
	s_nop 2
	flat_store_dword v[8:9], v14 offset:216
	flat_load_dword v12, v[4:5] offset:24
	flat_load_dword v13, v[6:7] offset:28
	s_waitcnt vmcnt(0) lgkmcnt(0)
	v_dot4c_i32_i8_e32 v15, v12, v13
	s_nop 2
	flat_store_dword v[8:9], v15 offset:220
	flat_load_dword v12, v[4:5] offset:28
	;; [unrolled: 6-line block ×6, first 2 shown]
	flat_load_dwordx2 v[12:13], v[10:11]
	s_waitcnt vmcnt(0) lgkmcnt(0)
	v_ashrrev_i32_e32 v15, 31, v14
	v_add_co_u32_e32 v12, vcc, v12, v14
	v_addc_co_u32_e32 v13, vcc, v13, v15, vcc
	v_add_co_u32_e32 v12, vcc, s4, v12
	v_addc_co_u32_e32 v13, vcc, 0, v13, vcc
	flat_load_dwordx4 v[12:15], v[12:13] offset:3328
	s_waitcnt vmcnt(0) lgkmcnt(0)
	flat_store_dwordx4 v[6:7], v[12:15] offset:16
	flat_load_dword v14, v[0:1] offset:16
	s_nop 0
	flat_load_dwordx2 v[12:13], v[2:3]
	s_waitcnt vmcnt(0) lgkmcnt(0)
	v_ashrrev_i32_e32 v15, 31, v14
	v_add_co_u32_e32 v12, vcc, v12, v14
	v_addc_co_u32_e32 v13, vcc, v13, v15, vcc
	v_add_co_u32_e32 v16, vcc, s4, v12
	v_addc_co_u32_e32 v17, vcc, 0, v13, vcc
	flat_load_dwordx4 v[12:15], v[16:17] offset:3328
	flat_load_dword v20, v[4:5]
	s_waitcnt vmcnt(0) lgkmcnt(0)
	flat_store_dwordx4 v[4:5], v[12:15] offset:16
	flat_load_dword v21, v[6:7]
	flat_load_dwordx4 v[16:19], v[8:9]
	s_nop 0
	flat_load_dwordx4 v[12:15], v[8:9] offset:16
	s_waitcnt vmcnt(0) lgkmcnt(0)
	v_dot4c_i32_i8_e32 v16, v20, v21
	s_nop 2
	flat_store_dword v[8:9], v16
	flat_load_dword v16, v[4:5]
	s_nop 0
	flat_load_dword v20, v[6:7] offset:4
	s_waitcnt vmcnt(0) lgkmcnt(0)
	v_dot4c_i32_i8_e32 v17, v16, v20
	s_nop 2
	flat_store_dword v[8:9], v17 offset:4
	flat_load_dword v16, v[4:5]
	s_nop 0
	flat_load_dword v17, v[6:7] offset:8
	s_waitcnt vmcnt(0) lgkmcnt(0)
	v_dot4c_i32_i8_e32 v18, v16, v17
	s_nop 2
	flat_store_dword v[8:9], v18 offset:8
	flat_load_dword v16, v[4:5]
	flat_load_dword v17, v[6:7] offset:12
	s_waitcnt vmcnt(0) lgkmcnt(0)
	v_dot4c_i32_i8_e32 v19, v16, v17
	s_nop 2
	flat_store_dword v[8:9], v19 offset:12
	flat_load_dword v24, v[4:5] offset:4
	flat_load_dword v25, v[6:7]
	s_nop 0
	flat_load_dwordx4 v[16:19], v[8:9] offset:32
	flat_load_dwordx4 v[20:23], v[8:9] offset:48
	s_waitcnt vmcnt(0) lgkmcnt(0)
	v_dot4c_i32_i8_e32 v16, v24, v25
	s_nop 2
	flat_store_dword v[8:9], v16 offset:32
	flat_load_dword v16, v[4:5] offset:4
	s_nop 0
	flat_load_dword v24, v[6:7] offset:4
	s_waitcnt vmcnt(0) lgkmcnt(0)
	v_dot4c_i32_i8_e32 v17, v16, v24
	s_nop 2
	flat_store_dword v[8:9], v17 offset:36
	flat_load_dword v16, v[4:5] offset:4
	s_nop 0
	flat_load_dword v17, v[6:7] offset:8
	s_waitcnt vmcnt(0) lgkmcnt(0)
	v_dot4c_i32_i8_e32 v18, v16, v17
	s_nop 2
	flat_store_dword v[8:9], v18 offset:40
	flat_load_dword v16, v[4:5] offset:4
	flat_load_dword v17, v[6:7] offset:12
	s_waitcnt vmcnt(0) lgkmcnt(0)
	v_dot4c_i32_i8_e32 v19, v16, v17
	s_nop 2
	flat_store_dword v[8:9], v19 offset:44
	flat_load_dword v28, v[4:5] offset:8
	flat_load_dword v29, v[6:7]
	s_nop 0
	flat_load_dwordx4 v[16:19], v[8:9] offset:64
	flat_load_dwordx4 v[24:27], v[8:9] offset:80
	s_waitcnt vmcnt(0) lgkmcnt(0)
	v_dot4c_i32_i8_e32 v16, v28, v29
	s_nop 2
	flat_store_dword v[8:9], v16 offset:64
	flat_load_dword v16, v[4:5] offset:8
	s_nop 0
	flat_load_dword v28, v[6:7] offset:4
	s_waitcnt vmcnt(0) lgkmcnt(0)
	v_dot4c_i32_i8_e32 v17, v16, v28
	s_nop 2
	flat_store_dword v[8:9], v17 offset:68
	flat_load_dword v16, v[4:5] offset:8
	s_nop 0
	flat_load_dword v17, v[6:7] offset:8
	s_waitcnt vmcnt(0) lgkmcnt(0)
	v_dot4c_i32_i8_e32 v18, v16, v17
	s_nop 2
	flat_store_dword v[8:9], v18 offset:72
	flat_load_dword v16, v[4:5] offset:8
	;; [unrolled: 29-line block ×3, first 2 shown]
	flat_load_dword v17, v[6:7] offset:12
	s_waitcnt vmcnt(0) lgkmcnt(0)
	v_dot4c_i32_i8_e32 v19, v16, v17
	s_nop 2
	flat_store_dword v[8:9], v19 offset:108
	flat_load_dword v16, v[4:5]
	flat_load_dword v17, v[6:7] offset:16
	s_waitcnt vmcnt(0) lgkmcnt(0)
	v_dot4c_i32_i8_e32 v12, v16, v17
	s_nop 2
	flat_store_dword v[8:9], v12 offset:16
	flat_load_dword v12, v[4:5]
	s_nop 0
	flat_load_dword v16, v[6:7] offset:20
	s_waitcnt vmcnt(0) lgkmcnt(0)
	v_dot4c_i32_i8_e32 v13, v12, v16
	s_nop 2
	flat_store_dword v[8:9], v13 offset:20
	flat_load_dword v12, v[4:5]
	s_nop 0
	flat_load_dword v13, v[6:7] offset:24
	s_waitcnt vmcnt(0) lgkmcnt(0)
	v_dot4c_i32_i8_e32 v14, v12, v13
	s_nop 2
	flat_store_dword v[8:9], v14 offset:24
	flat_load_dword v12, v[4:5]
	flat_load_dword v13, v[6:7] offset:28
	s_waitcnt vmcnt(0) lgkmcnt(0)
	v_dot4c_i32_i8_e32 v15, v12, v13
	s_nop 2
	flat_store_dword v[8:9], v15 offset:28
	flat_load_dword v12, v[4:5] offset:4
	flat_load_dword v13, v[6:7] offset:16
	s_waitcnt vmcnt(0) lgkmcnt(0)
	v_dot4c_i32_i8_e32 v20, v12, v13
	s_nop 2
	flat_store_dword v[8:9], v20 offset:48
	flat_load_dword v12, v[4:5] offset:4
	;; [unrolled: 6-line block ×13, first 2 shown]
	flat_load_dwordx2 v[12:13], v[2:3]
	s_waitcnt vmcnt(0) lgkmcnt(0)
	v_ashrrev_i32_e32 v15, 31, v14
	v_add_co_u32_e32 v12, vcc, v12, v14
	v_addc_co_u32_e32 v13, vcc, v13, v15, vcc
	v_add_co_u32_e32 v16, vcc, s4, v12
	v_addc_co_u32_e32 v17, vcc, 0, v13, vcc
	flat_load_dwordx4 v[12:15], v[16:17] offset:3584
	flat_load_dword v20, v[4:5] offset:16
	s_waitcnt vmcnt(0) lgkmcnt(0)
	flat_store_dwordx4 v[4:5], v[12:15]
	flat_load_dword v21, v[6:7]
	s_nop 0
	flat_load_dwordx4 v[12:15], v[8:9] offset:128
	flat_load_dwordx4 v[16:19], v[8:9] offset:160
	s_waitcnt vmcnt(0) lgkmcnt(0)
	v_dot4c_i32_i8_e32 v12, v20, v21
	s_nop 2
	flat_store_dword v[8:9], v12 offset:128
	flat_load_dword v12, v[4:5] offset:16
	s_nop 0
	flat_load_dword v20, v[6:7] offset:4
	s_waitcnt vmcnt(0) lgkmcnt(0)
	v_dot4c_i32_i8_e32 v13, v12, v20
	s_nop 2
	flat_store_dword v[8:9], v13 offset:132
	flat_load_dword v12, v[4:5] offset:16
	s_nop 0
	flat_load_dword v13, v[6:7] offset:8
	s_waitcnt vmcnt(0) lgkmcnt(0)
	v_dot4c_i32_i8_e32 v14, v12, v13
	s_nop 2
	flat_store_dword v[8:9], v14 offset:136
	flat_load_dword v12, v[4:5] offset:16
	flat_load_dword v13, v[6:7] offset:12
	s_waitcnt vmcnt(0) lgkmcnt(0)
	v_dot4c_i32_i8_e32 v15, v12, v13
	s_nop 2
	flat_store_dword v[8:9], v15 offset:140
	flat_load_dword v12, v[4:5] offset:20
	flat_load_dword v13, v[6:7]
	s_waitcnt vmcnt(0) lgkmcnt(0)
	v_dot4c_i32_i8_e32 v16, v12, v13
	s_nop 2
	flat_store_dword v[8:9], v16 offset:160
	flat_load_dword v12, v[4:5] offset:20
	flat_load_dword v13, v[6:7] offset:4
	s_waitcnt vmcnt(0) lgkmcnt(0)
	v_dot4c_i32_i8_e32 v17, v12, v13
	s_nop 2
	flat_store_dword v[8:9], v17 offset:164
	flat_load_dword v12, v[4:5] offset:20
	flat_load_dword v13, v[6:7] offset:8
	;; [unrolled: 6-line block ×3, first 2 shown]
	s_waitcnt vmcnt(0) lgkmcnt(0)
	v_dot4c_i32_i8_e32 v19, v12, v13
	s_nop 2
	flat_store_dword v[8:9], v19 offset:172
	flat_load_dword v20, v[4:5] offset:24
	flat_load_dword v21, v[6:7]
	flat_load_dwordx4 v[12:15], v[8:9] offset:192
	s_nop 0
	flat_load_dwordx4 v[16:19], v[8:9] offset:224
	s_waitcnt vmcnt(0) lgkmcnt(0)
	v_dot4c_i32_i8_e32 v12, v20, v21
	s_nop 2
	flat_store_dword v[8:9], v12 offset:192
	flat_load_dword v12, v[4:5] offset:24
	s_nop 0
	flat_load_dword v20, v[6:7] offset:4
	s_waitcnt vmcnt(0) lgkmcnt(0)
	v_dot4c_i32_i8_e32 v13, v12, v20
	s_nop 2
	flat_store_dword v[8:9], v13 offset:196
	flat_load_dword v12, v[4:5] offset:24
	s_nop 0
	flat_load_dword v13, v[6:7] offset:8
	s_waitcnt vmcnt(0) lgkmcnt(0)
	v_dot4c_i32_i8_e32 v14, v12, v13
	s_nop 2
	flat_store_dword v[8:9], v14 offset:200
	flat_load_dword v12, v[4:5] offset:24
	flat_load_dword v13, v[6:7] offset:12
	s_waitcnt vmcnt(0) lgkmcnt(0)
	v_dot4c_i32_i8_e32 v15, v12, v13
	s_nop 2
	flat_store_dword v[8:9], v15 offset:204
	flat_load_dword v12, v[4:5] offset:28
	flat_load_dword v13, v[6:7]
	s_waitcnt vmcnt(0) lgkmcnt(0)
	v_dot4c_i32_i8_e32 v16, v12, v13
	s_nop 2
	flat_store_dword v[8:9], v16 offset:224
	flat_load_dword v12, v[4:5] offset:28
	flat_load_dword v13, v[6:7] offset:4
	s_waitcnt vmcnt(0) lgkmcnt(0)
	v_dot4c_i32_i8_e32 v17, v12, v13
	s_nop 2
	flat_store_dword v[8:9], v17 offset:228
	flat_load_dword v12, v[4:5] offset:28
	flat_load_dword v13, v[6:7] offset:8
	;; [unrolled: 6-line block ×3, first 2 shown]
	s_waitcnt vmcnt(0) lgkmcnt(0)
	v_dot4c_i32_i8_e32 v19, v12, v13
	s_nop 2
	flat_store_dword v[8:9], v19 offset:236
	flat_load_dword v14, v[0:1] offset:48
	flat_load_dwordx2 v[12:13], v[10:11]
	s_waitcnt vmcnt(0) lgkmcnt(0)
	v_ashrrev_i32_e32 v15, 31, v14
	v_add_co_u32_e32 v12, vcc, v12, v14
	v_addc_co_u32_e32 v13, vcc, v13, v15, vcc
	v_add_co_u32_e32 v16, vcc, s4, v12
	v_addc_co_u32_e32 v17, vcc, 0, v13, vcc
	flat_load_dwordx4 v[12:15], v[16:17] offset:3584
	flat_load_dword v20, v[6:7] offset:16
	s_waitcnt vmcnt(0) lgkmcnt(0)
	flat_store_dwordx4 v[6:7], v[12:15]
	flat_load_dword v21, v[4:5] offset:16
	s_nop 0
	flat_load_dwordx4 v[12:15], v[8:9] offset:144
	flat_load_dwordx4 v[16:19], v[8:9] offset:176
	s_waitcnt vmcnt(0) lgkmcnt(0)
	v_dot4c_i32_i8_e32 v12, v21, v20
	s_nop 2
	flat_store_dword v[8:9], v12 offset:144
	flat_load_dword v12, v[4:5] offset:16
	s_nop 0
	flat_load_dword v20, v[6:7] offset:20
	s_waitcnt vmcnt(0) lgkmcnt(0)
	v_dot4c_i32_i8_e32 v13, v12, v20
	s_nop 2
	flat_store_dword v[8:9], v13 offset:148
	flat_load_dword v12, v[4:5] offset:16
	s_nop 0
	flat_load_dword v13, v[6:7] offset:24
	s_waitcnt vmcnt(0) lgkmcnt(0)
	v_dot4c_i32_i8_e32 v14, v12, v13
	s_nop 2
	flat_store_dword v[8:9], v14 offset:152
	flat_load_dword v12, v[4:5] offset:16
	flat_load_dword v13, v[6:7] offset:28
	s_waitcnt vmcnt(0) lgkmcnt(0)
	v_dot4c_i32_i8_e32 v15, v12, v13
	s_nop 2
	flat_store_dword v[8:9], v15 offset:156
	flat_load_dword v12, v[4:5] offset:20
	;; [unrolled: 6-line block ×6, first 2 shown]
	flat_load_dword v21, v[6:7] offset:16
	flat_load_dwordx4 v[12:15], v[8:9] offset:208
	s_nop 0
	flat_load_dwordx4 v[16:19], v[8:9] offset:240
	s_waitcnt vmcnt(0) lgkmcnt(0)
	v_dot4c_i32_i8_e32 v12, v20, v21
	s_nop 2
	flat_store_dword v[8:9], v12 offset:208
	flat_load_dword v12, v[4:5] offset:24
	s_nop 0
	flat_load_dword v20, v[6:7] offset:20
	s_waitcnt vmcnt(0) lgkmcnt(0)
	v_dot4c_i32_i8_e32 v13, v12, v20
	s_nop 2
	flat_store_dword v[8:9], v13 offset:212
	flat_load_dword v12, v[4:5] offset:24
	s_nop 0
	flat_load_dword v13, v[6:7] offset:24
	s_waitcnt vmcnt(0) lgkmcnt(0)
	v_dot4c_i32_i8_e32 v14, v12, v13
	s_nop 2
	flat_store_dword v[8:9], v14 offset:216
	flat_load_dword v12, v[4:5] offset:24
	flat_load_dword v13, v[6:7] offset:28
	s_waitcnt vmcnt(0) lgkmcnt(0)
	v_dot4c_i32_i8_e32 v15, v12, v13
	s_nop 2
	flat_store_dword v[8:9], v15 offset:220
	flat_load_dword v12, v[4:5] offset:28
	;; [unrolled: 6-line block ×6, first 2 shown]
	flat_load_dwordx2 v[12:13], v[10:11]
	s_waitcnt vmcnt(0) lgkmcnt(0)
	v_ashrrev_i32_e32 v10, 31, v14
	v_add_co_u32_e32 v11, vcc, v12, v14
	v_addc_co_u32_e32 v12, vcc, v13, v10, vcc
	v_add_co_u32_e32 v10, vcc, s4, v11
	v_addc_co_u32_e32 v11, vcc, 0, v12, vcc
	flat_load_dwordx4 v[10:13], v[10:11] offset:3840
	s_waitcnt vmcnt(0) lgkmcnt(0)
	flat_store_dwordx4 v[6:7], v[10:13] offset:16
	flat_load_dword v12, v[0:1] offset:16
	s_nop 0
	flat_load_dwordx2 v[10:11], v[2:3]
	s_waitcnt vmcnt(0) lgkmcnt(0)
	v_ashrrev_i32_e32 v0, 31, v12
	v_add_co_u32_e32 v1, vcc, v10, v12
	v_addc_co_u32_e32 v0, vcc, v11, v0, vcc
	v_add_co_u32_e32 v10, vcc, s4, v1
	v_addc_co_u32_e32 v11, vcc, 0, v0, vcc
	flat_load_dwordx4 v[0:3], v[10:11] offset:3840
	flat_load_dword v14, v[4:5]
	s_waitcnt vmcnt(0) lgkmcnt(0)
	flat_store_dwordx4 v[4:5], v[0:3] offset:16
	flat_load_dword v15, v[6:7]
	flat_load_dwordx4 v[10:13], v[8:9]
	s_nop 0
	flat_load_dwordx4 v[0:3], v[8:9] offset:16
	s_waitcnt vmcnt(0) lgkmcnt(0)
	v_dot4c_i32_i8_e32 v10, v14, v15
	s_nop 2
	flat_store_dword v[8:9], v10
	flat_load_dword v10, v[4:5]
	s_nop 0
	flat_load_dword v14, v[6:7] offset:4
	s_waitcnt vmcnt(0) lgkmcnt(0)
	v_dot4c_i32_i8_e32 v11, v10, v14
	s_nop 2
	flat_store_dword v[8:9], v11 offset:4
	flat_load_dword v10, v[4:5]
	s_nop 0
	flat_load_dword v11, v[6:7] offset:8
	s_waitcnt vmcnt(0) lgkmcnt(0)
	v_dot4c_i32_i8_e32 v12, v10, v11
	s_nop 2
	flat_store_dword v[8:9], v12 offset:8
	flat_load_dword v10, v[4:5]
	flat_load_dword v11, v[6:7] offset:12
	s_waitcnt vmcnt(0) lgkmcnt(0)
	v_dot4c_i32_i8_e32 v13, v10, v11
	s_nop 2
	flat_store_dword v[8:9], v13 offset:12
	flat_load_dword v18, v[4:5] offset:4
	flat_load_dword v19, v[6:7]
	s_nop 0
	flat_load_dwordx4 v[10:13], v[8:9] offset:32
	flat_load_dwordx4 v[14:17], v[8:9] offset:48
	s_waitcnt vmcnt(0) lgkmcnt(0)
	v_dot4c_i32_i8_e32 v10, v18, v19
	s_nop 2
	flat_store_dword v[8:9], v10 offset:32
	flat_load_dword v10, v[4:5] offset:4
	s_nop 0
	flat_load_dword v18, v[6:7] offset:4
	s_waitcnt vmcnt(0) lgkmcnt(0)
	v_dot4c_i32_i8_e32 v11, v10, v18
	s_nop 2
	flat_store_dword v[8:9], v11 offset:36
	flat_load_dword v10, v[4:5] offset:4
	s_nop 0
	flat_load_dword v11, v[6:7] offset:8
	s_waitcnt vmcnt(0) lgkmcnt(0)
	v_dot4c_i32_i8_e32 v12, v10, v11
	s_nop 2
	flat_store_dword v[8:9], v12 offset:40
	flat_load_dword v10, v[4:5] offset:4
	flat_load_dword v11, v[6:7] offset:12
	s_waitcnt vmcnt(0) lgkmcnt(0)
	v_dot4c_i32_i8_e32 v13, v10, v11
	s_nop 2
	flat_store_dword v[8:9], v13 offset:44
	flat_load_dword v22, v[4:5] offset:8
	flat_load_dword v23, v[6:7]
	s_nop 0
	flat_load_dwordx4 v[10:13], v[8:9] offset:64
	flat_load_dwordx4 v[18:21], v[8:9] offset:80
	s_waitcnt vmcnt(0) lgkmcnt(0)
	v_dot4c_i32_i8_e32 v10, v22, v23
	s_nop 2
	flat_store_dword v[8:9], v10 offset:64
	flat_load_dword v10, v[4:5] offset:8
	s_nop 0
	flat_load_dword v22, v[6:7] offset:4
	s_waitcnt vmcnt(0) lgkmcnt(0)
	v_dot4c_i32_i8_e32 v11, v10, v22
	s_nop 2
	flat_store_dword v[8:9], v11 offset:68
	flat_load_dword v10, v[4:5] offset:8
	s_nop 0
	flat_load_dword v11, v[6:7] offset:8
	s_waitcnt vmcnt(0) lgkmcnt(0)
	v_dot4c_i32_i8_e32 v12, v10, v11
	s_nop 2
	flat_store_dword v[8:9], v12 offset:72
	flat_load_dword v10, v[4:5] offset:8
	;; [unrolled: 29-line block ×3, first 2 shown]
	flat_load_dword v11, v[6:7] offset:12
	s_waitcnt vmcnt(0) lgkmcnt(0)
	v_dot4c_i32_i8_e32 v13, v10, v11
	s_nop 2
	flat_store_dword v[8:9], v13 offset:108
	flat_load_dword v10, v[4:5]
	flat_load_dword v11, v[6:7] offset:16
	s_waitcnt vmcnt(0) lgkmcnt(0)
	v_dot4c_i32_i8_e32 v0, v10, v11
	s_nop 2
	flat_store_dword v[8:9], v0 offset:16
	flat_load_dword v0, v[4:5]
	s_nop 0
	flat_load_dword v10, v[6:7] offset:20
	s_waitcnt vmcnt(0) lgkmcnt(0)
	v_dot4c_i32_i8_e32 v1, v0, v10
	s_nop 2
	flat_store_dword v[8:9], v1 offset:20
	flat_load_dword v0, v[4:5]
	s_nop 0
	flat_load_dword v1, v[6:7] offset:24
	s_waitcnt vmcnt(0) lgkmcnt(0)
	v_dot4c_i32_i8_e32 v2, v0, v1
	s_nop 2
	flat_store_dword v[8:9], v2 offset:24
	flat_load_dword v0, v[4:5]
	flat_load_dword v1, v[6:7] offset:28
	s_waitcnt vmcnt(0) lgkmcnt(0)
	v_dot4c_i32_i8_e32 v3, v0, v1
	s_nop 2
	flat_store_dword v[8:9], v3 offset:28
	flat_load_dword v0, v[4:5] offset:4
	flat_load_dword v1, v[6:7] offset:16
	s_waitcnt vmcnt(0) lgkmcnt(0)
	v_dot4c_i32_i8_e32 v14, v0, v1
	s_nop 2
	flat_store_dword v[8:9], v14 offset:48
	flat_load_dword v0, v[4:5] offset:4
	;; [unrolled: 6-line block ×12, first 2 shown]
	flat_load_dword v1, v[6:7] offset:28
	s_waitcnt vmcnt(0) lgkmcnt(0)
	v_dot4c_i32_i8_e32 v25, v0, v1
	s_nop 2
	flat_store_dword v[8:9], v25 offset:124
	s_waitcnt vmcnt(0) lgkmcnt(0)
	s_setpc_b64 s[30:31]
.Lfunc_end1:
	.size	_ZNK2ck6detail15static_for_implINS_8SequenceIJLi1ELi2ELi3ELi4ELi5ELi6ELi7ELi8ELi9ELi10ELi11ELi12ELi13ELi14ELi15EEEEEclIZNKS_80BlockwiseGemmDl_A_BK0_BM_BK1_B_BK0_BN_BK1_C_BM0_BM1_BN0_BN1_pipeline_BM0_2_BN0_2ILi256EaaiKNS_16TensorDescriptorINS_5TupleIJNS_5EmbedINS8_IJNS_17integral_constantIiLi16EEENSA_IiLi128EEENSA_IiLi4EEEEEENS8_IJNSA_IiLi512EEESD_NSA_IiLi1EEEEEELb0EEEEEENS8_IJNS2_IJLi0EEEEEEENS8_IJNS2_IJLi1ELi2ELi3EEEEEEESM_NSA_IlLl8192EEEEESQ_Li4ELi4ELi1ENS2_IJLi8ELi2EEEESR_Li4ELi4ELb0EE3RunINS7_INS8_IJNS_7UnMergeINS8_IJNSA_IiLi2EEESD_SV_SD_EEELb0EEEEEESL_NS8_IJNS2_IJLi1ELi2ELi3ELi4EEEEEEESZ_NSA_IlLl64EEEEENS_13DynamicBufferILNS_16AddressSpaceEnumE2EaSO_Lb1ELNS_22AmdBufferCoherenceEnumE0EiEES16_NS_12StaticBufferILS14_4EiLi64ELb1EEEEEvRKT_RKT0_RKT1_RT2_EUlS19_E_EEvS19_, .Lfunc_end1-_ZNK2ck6detail15static_for_implINS_8SequenceIJLi1ELi2ELi3ELi4ELi5ELi6ELi7ELi8ELi9ELi10ELi11ELi12ELi13ELi14ELi15EEEEEclIZNKS_80BlockwiseGemmDl_A_BK0_BM_BK1_B_BK0_BN_BK1_C_BM0_BM1_BN0_BN1_pipeline_BM0_2_BN0_2ILi256EaaiKNS_16TensorDescriptorINS_5TupleIJNS_5EmbedINS8_IJNS_17integral_constantIiLi16EEENSA_IiLi128EEENSA_IiLi4EEEEEENS8_IJNSA_IiLi512EEESD_NSA_IiLi1EEEEEELb0EEEEEENS8_IJNS2_IJLi0EEEEEEENS8_IJNS2_IJLi1ELi2ELi3EEEEEEESM_NSA_IlLl8192EEEEESQ_Li4ELi4ELi1ENS2_IJLi8ELi2EEEESR_Li4ELi4ELb0EE3RunINS7_INS8_IJNS_7UnMergeINS8_IJNSA_IiLi2EEESD_SV_SD_EEELb0EEEEEESL_NS8_IJNS2_IJLi1ELi2ELi3ELi4EEEEEEESZ_NSA_IlLl64EEEEENS_13DynamicBufferILNS_16AddressSpaceEnumE2EaSO_Lb1ELNS_22AmdBufferCoherenceEnumE0EiEES16_NS_12StaticBufferILS14_4EiLi64ELb1EEEEEvRKT_RKT0_RKT1_RT2_EUlS19_E_EEvS19_
                                        ; -- End function
	.section	.AMDGPU.csdata,"",@progbits
; Function info:
; codeLenInByte = 41472
; NumSgprs: 36
; NumVgprs: 34
; NumAgprs: 0
; TotalNumVgprs: 34
; ScratchSize: 0
; MemoryBound: 0
	.section	.text._ZN2ck16tensor_operation6device12_GLOBAL__N_137kernel_grouped_conv_fwd_dl_multiple_dINS_32GridwiseGemmDlMultipleD_km_kn_mnILi256EaiNS_5TupleIJaEEEaNS0_12element_wise11PassThroughES8_NS7_7AddReluELNS_25InMemoryDataOperationEnumE0ENS_16TensorDescriptorINS5_IJNS_5EmbedINS5_IJiiiEEESD_Lb0EEENS_11PassThroughIiEENS_3PadIiiiLb0EEESG_SG_NSC_INS5_IJiiEEESJ_Lb0EEESG_NS_23Merge_v2_magic_divisionISJ_EESM_NS_8RightPadIiiLb0EEESO_NS_7UnMergeISJ_Lb0EEESG_EEENS5_IJNS_8SequenceIJLi0EEEENSS_IJLi1EEEENSS_IJLi2EEEENSS_IJLi3EEEENSS_IJLi4EEEENSS_IJLi5EEEENSS_IJLi6EEEENSS_IJLi7ELi9EEEENSS_IJLi8ELi10EEEENSS_IJLi11EEEENSS_IJLi12EEEENSS_IJLi14EEEENSS_IJLi13EEEEEEENS5_IJNSS_IJLi1ELi2ELi3EEEESX_SY_SZ_NSS_IJLi7EEEENSS_IJLi8ELi9EEEENSS_IJLi10EEEES12_S13_S15_S14_NSS_IJLi15ELi16EEEENSS_IJLi17EEEEEEENSS_IJLi15ELi17ELi16EEEElEENSB_INS5_IJSQ_SO_SO_SQ_SG_EEENS5_IJST_SU_SV_SX_SW_EEENS5_IJNSS_IJLi1ELi2EEEESW_SX_NSS_IJLi5ELi6EEEES18_EEENSS_IJLi5ELi7ELi6EEEElEENSB_INS5_IJSK_SO_SO_EEENS5_IJST_SU_SV_EEENS5_IJS1I_SW_SX_EEENSS_IJLi3ELi4EEEElEELi128ELi128ELi16ELi4ELi4ELi4ELi1ENSS_IJLi8ELi2EEEES1S_NSS_IJLi8ELi1ELi1ELi4EEEENSS_IJLi2ELi1ELi128ELi1EEEENSS_IJLi1ELi2ELi0ELi3EEEES1V_NSS_IJLi4ELi1ELi1ELi4EEEES1V_NSS_IJLi1ELi1ELi1ELi4EEEES1T_S1U_S1V_S1V_S1W_S1V_S1X_NSS_IJLi0ELi1ELi2ELi3ELi4ELi5EEEELi5ELi4EEEaNS5_IJPKaEEEaS8_S8_S9_NSB_INS5_IJSE_SG_SI_SG_SG_SK_SG_SM_SM_SO_SO_SQ_SG_SG_NSP_INS5_IJiNS_17integral_constantIiLi128EEEEEELb0EEENSF_INS23_IiLi4EEEEEEEENS5_IJST_SU_SV_SW_SX_SY_SZ_S10_S11_S12_S13_S14_S15_NSS_IJLi15EEEES1C_NSS_IJLi16EEEEEEENS5_IJS17_SX_SY_SZ_S18_S19_S1A_S12_S13_S15_S14_S1B_S1C_NSS_IJLi18EEEENSS_IJLi19ELi20EEEENSS_IJLi21EEEEEEENSS_IJLi18ELi19ELi20ELi21EEEElEENSB_INS5_IJSQ_SO_SO_SQ_SG_SG_S26_S28_EEENS5_IJST_SU_SV_SX_SW_SY_S18_SZ_EEENS5_IJS1I_SW_SX_S1J_S18_NSS_IJLi8EEEENSS_IJLi9ELi10EEEES12_EEENSS_IJLi8ELi9ELi10ELi11EEEElEENS5_IJNSB_INS5_IJSK_SO_SO_NSP_INS5_IJiNS23_IiLi2EEENS23_IiLi64EEEEEELb0EEES2T_EEENS5_IJST_SU_SV_SW_SX_EEENS5_IJS1I_SW_SX_NSS_IJLi5ELi6ELi7EEEENSS_IJLi8ELi9ELi10EEEEEEENSS_IJLi5ELi6ELi7ELi8ELi9ELi10EEEElEEEEES30_NS_31BlockToCTileMap_M00_N00_M01_N01ILi128ELi128ES1R_Lb0EEENS1_30ComputePtrOffsetOfStridedBatchILi1ELi1ELi1EvEELb1ELb1EEEvPKT0_S38_T1_PT2_T3_T4_T5_iT6_T7_T8_T9_T10_T11_,"axG",@progbits,_ZN2ck16tensor_operation6device12_GLOBAL__N_137kernel_grouped_conv_fwd_dl_multiple_dINS_32GridwiseGemmDlMultipleD_km_kn_mnILi256EaiNS_5TupleIJaEEEaNS0_12element_wise11PassThroughES8_NS7_7AddReluELNS_25InMemoryDataOperationEnumE0ENS_16TensorDescriptorINS5_IJNS_5EmbedINS5_IJiiiEEESD_Lb0EEENS_11PassThroughIiEENS_3PadIiiiLb0EEESG_SG_NSC_INS5_IJiiEEESJ_Lb0EEESG_NS_23Merge_v2_magic_divisionISJ_EESM_NS_8RightPadIiiLb0EEESO_NS_7UnMergeISJ_Lb0EEESG_EEENS5_IJNS_8SequenceIJLi0EEEENSS_IJLi1EEEENSS_IJLi2EEEENSS_IJLi3EEEENSS_IJLi4EEEENSS_IJLi5EEEENSS_IJLi6EEEENSS_IJLi7ELi9EEEENSS_IJLi8ELi10EEEENSS_IJLi11EEEENSS_IJLi12EEEENSS_IJLi14EEEENSS_IJLi13EEEEEEENS5_IJNSS_IJLi1ELi2ELi3EEEESX_SY_SZ_NSS_IJLi7EEEENSS_IJLi8ELi9EEEENSS_IJLi10EEEES12_S13_S15_S14_NSS_IJLi15ELi16EEEENSS_IJLi17EEEEEEENSS_IJLi15ELi17ELi16EEEElEENSB_INS5_IJSQ_SO_SO_SQ_SG_EEENS5_IJST_SU_SV_SX_SW_EEENS5_IJNSS_IJLi1ELi2EEEESW_SX_NSS_IJLi5ELi6EEEES18_EEENSS_IJLi5ELi7ELi6EEEElEENSB_INS5_IJSK_SO_SO_EEENS5_IJST_SU_SV_EEENS5_IJS1I_SW_SX_EEENSS_IJLi3ELi4EEEElEELi128ELi128ELi16ELi4ELi4ELi4ELi1ENSS_IJLi8ELi2EEEES1S_NSS_IJLi8ELi1ELi1ELi4EEEENSS_IJLi2ELi1ELi128ELi1EEEENSS_IJLi1ELi2ELi0ELi3EEEES1V_NSS_IJLi4ELi1ELi1ELi4EEEES1V_NSS_IJLi1ELi1ELi1ELi4EEEES1T_S1U_S1V_S1V_S1W_S1V_S1X_NSS_IJLi0ELi1ELi2ELi3ELi4ELi5EEEELi5ELi4EEEaNS5_IJPKaEEEaS8_S8_S9_NSB_INS5_IJSE_SG_SI_SG_SG_SK_SG_SM_SM_SO_SO_SQ_SG_SG_NSP_INS5_IJiNS_17integral_constantIiLi128EEEEEELb0EEENSF_INS23_IiLi4EEEEEEEENS5_IJST_SU_SV_SW_SX_SY_SZ_S10_S11_S12_S13_S14_S15_NSS_IJLi15EEEES1C_NSS_IJLi16EEEEEEENS5_IJS17_SX_SY_SZ_S18_S19_S1A_S12_S13_S15_S14_S1B_S1C_NSS_IJLi18EEEENSS_IJLi19ELi20EEEENSS_IJLi21EEEEEEENSS_IJLi18ELi19ELi20ELi21EEEElEENSB_INS5_IJSQ_SO_SO_SQ_SG_SG_S26_S28_EEENS5_IJST_SU_SV_SX_SW_SY_S18_SZ_EEENS5_IJS1I_SW_SX_S1J_S18_NSS_IJLi8EEEENSS_IJLi9ELi10EEEES12_EEENSS_IJLi8ELi9ELi10ELi11EEEElEENS5_IJNSB_INS5_IJSK_SO_SO_NSP_INS5_IJiNS23_IiLi2EEENS23_IiLi64EEEEEELb0EEES2T_EEENS5_IJST_SU_SV_SW_SX_EEENS5_IJS1I_SW_SX_NSS_IJLi5ELi6ELi7EEEENSS_IJLi8ELi9ELi10EEEEEEENSS_IJLi5ELi6ELi7ELi8ELi9ELi10EEEElEEEEES30_NS_31BlockToCTileMap_M00_N00_M01_N01ILi128ELi128ES1R_Lb0EEENS1_30ComputePtrOffsetOfStridedBatchILi1ELi1ELi1EvEELb1ELb1EEEvPKT0_S38_T1_PT2_T3_T4_T5_iT6_T7_T8_T9_T10_T11_,comdat
	.globl	_ZN2ck16tensor_operation6device12_GLOBAL__N_137kernel_grouped_conv_fwd_dl_multiple_dINS_32GridwiseGemmDlMultipleD_km_kn_mnILi256EaiNS_5TupleIJaEEEaNS0_12element_wise11PassThroughES8_NS7_7AddReluELNS_25InMemoryDataOperationEnumE0ENS_16TensorDescriptorINS5_IJNS_5EmbedINS5_IJiiiEEESD_Lb0EEENS_11PassThroughIiEENS_3PadIiiiLb0EEESG_SG_NSC_INS5_IJiiEEESJ_Lb0EEESG_NS_23Merge_v2_magic_divisionISJ_EESM_NS_8RightPadIiiLb0EEESO_NS_7UnMergeISJ_Lb0EEESG_EEENS5_IJNS_8SequenceIJLi0EEEENSS_IJLi1EEEENSS_IJLi2EEEENSS_IJLi3EEEENSS_IJLi4EEEENSS_IJLi5EEEENSS_IJLi6EEEENSS_IJLi7ELi9EEEENSS_IJLi8ELi10EEEENSS_IJLi11EEEENSS_IJLi12EEEENSS_IJLi14EEEENSS_IJLi13EEEEEEENS5_IJNSS_IJLi1ELi2ELi3EEEESX_SY_SZ_NSS_IJLi7EEEENSS_IJLi8ELi9EEEENSS_IJLi10EEEES12_S13_S15_S14_NSS_IJLi15ELi16EEEENSS_IJLi17EEEEEEENSS_IJLi15ELi17ELi16EEEElEENSB_INS5_IJSQ_SO_SO_SQ_SG_EEENS5_IJST_SU_SV_SX_SW_EEENS5_IJNSS_IJLi1ELi2EEEESW_SX_NSS_IJLi5ELi6EEEES18_EEENSS_IJLi5ELi7ELi6EEEElEENSB_INS5_IJSK_SO_SO_EEENS5_IJST_SU_SV_EEENS5_IJS1I_SW_SX_EEENSS_IJLi3ELi4EEEElEELi128ELi128ELi16ELi4ELi4ELi4ELi1ENSS_IJLi8ELi2EEEES1S_NSS_IJLi8ELi1ELi1ELi4EEEENSS_IJLi2ELi1ELi128ELi1EEEENSS_IJLi1ELi2ELi0ELi3EEEES1V_NSS_IJLi4ELi1ELi1ELi4EEEES1V_NSS_IJLi1ELi1ELi1ELi4EEEES1T_S1U_S1V_S1V_S1W_S1V_S1X_NSS_IJLi0ELi1ELi2ELi3ELi4ELi5EEEELi5ELi4EEEaNS5_IJPKaEEEaS8_S8_S9_NSB_INS5_IJSE_SG_SI_SG_SG_SK_SG_SM_SM_SO_SO_SQ_SG_SG_NSP_INS5_IJiNS_17integral_constantIiLi128EEEEEELb0EEENSF_INS23_IiLi4EEEEEEEENS5_IJST_SU_SV_SW_SX_SY_SZ_S10_S11_S12_S13_S14_S15_NSS_IJLi15EEEES1C_NSS_IJLi16EEEEEEENS5_IJS17_SX_SY_SZ_S18_S19_S1A_S12_S13_S15_S14_S1B_S1C_NSS_IJLi18EEEENSS_IJLi19ELi20EEEENSS_IJLi21EEEEEEENSS_IJLi18ELi19ELi20ELi21EEEElEENSB_INS5_IJSQ_SO_SO_SQ_SG_SG_S26_S28_EEENS5_IJST_SU_SV_SX_SW_SY_S18_SZ_EEENS5_IJS1I_SW_SX_S1J_S18_NSS_IJLi8EEEENSS_IJLi9ELi10EEEES12_EEENSS_IJLi8ELi9ELi10ELi11EEEElEENS5_IJNSB_INS5_IJSK_SO_SO_NSP_INS5_IJiNS23_IiLi2EEENS23_IiLi64EEEEEELb0EEES2T_EEENS5_IJST_SU_SV_SW_SX_EEENS5_IJS1I_SW_SX_NSS_IJLi5ELi6ELi7EEEENSS_IJLi8ELi9ELi10EEEEEEENSS_IJLi5ELi6ELi7ELi8ELi9ELi10EEEElEEEEES30_NS_31BlockToCTileMap_M00_N00_M01_N01ILi128ELi128ES1R_Lb0EEENS1_30ComputePtrOffsetOfStridedBatchILi1ELi1ELi1EvEELb1ELb1EEEvPKT0_S38_T1_PT2_T3_T4_T5_iT6_T7_T8_T9_T10_T11_ ; -- Begin function _ZN2ck16tensor_operation6device12_GLOBAL__N_137kernel_grouped_conv_fwd_dl_multiple_dINS_32GridwiseGemmDlMultipleD_km_kn_mnILi256EaiNS_5TupleIJaEEEaNS0_12element_wise11PassThroughES8_NS7_7AddReluELNS_25InMemoryDataOperationEnumE0ENS_16TensorDescriptorINS5_IJNS_5EmbedINS5_IJiiiEEESD_Lb0EEENS_11PassThroughIiEENS_3PadIiiiLb0EEESG_SG_NSC_INS5_IJiiEEESJ_Lb0EEESG_NS_23Merge_v2_magic_divisionISJ_EESM_NS_8RightPadIiiLb0EEESO_NS_7UnMergeISJ_Lb0EEESG_EEENS5_IJNS_8SequenceIJLi0EEEENSS_IJLi1EEEENSS_IJLi2EEEENSS_IJLi3EEEENSS_IJLi4EEEENSS_IJLi5EEEENSS_IJLi6EEEENSS_IJLi7ELi9EEEENSS_IJLi8ELi10EEEENSS_IJLi11EEEENSS_IJLi12EEEENSS_IJLi14EEEENSS_IJLi13EEEEEEENS5_IJNSS_IJLi1ELi2ELi3EEEESX_SY_SZ_NSS_IJLi7EEEENSS_IJLi8ELi9EEEENSS_IJLi10EEEES12_S13_S15_S14_NSS_IJLi15ELi16EEEENSS_IJLi17EEEEEEENSS_IJLi15ELi17ELi16EEEElEENSB_INS5_IJSQ_SO_SO_SQ_SG_EEENS5_IJST_SU_SV_SX_SW_EEENS5_IJNSS_IJLi1ELi2EEEESW_SX_NSS_IJLi5ELi6EEEES18_EEENSS_IJLi5ELi7ELi6EEEElEENSB_INS5_IJSK_SO_SO_EEENS5_IJST_SU_SV_EEENS5_IJS1I_SW_SX_EEENSS_IJLi3ELi4EEEElEELi128ELi128ELi16ELi4ELi4ELi4ELi1ENSS_IJLi8ELi2EEEES1S_NSS_IJLi8ELi1ELi1ELi4EEEENSS_IJLi2ELi1ELi128ELi1EEEENSS_IJLi1ELi2ELi0ELi3EEEES1V_NSS_IJLi4ELi1ELi1ELi4EEEES1V_NSS_IJLi1ELi1ELi1ELi4EEEES1T_S1U_S1V_S1V_S1W_S1V_S1X_NSS_IJLi0ELi1ELi2ELi3ELi4ELi5EEEELi5ELi4EEEaNS5_IJPKaEEEaS8_S8_S9_NSB_INS5_IJSE_SG_SI_SG_SG_SK_SG_SM_SM_SO_SO_SQ_SG_SG_NSP_INS5_IJiNS_17integral_constantIiLi128EEEEEELb0EEENSF_INS23_IiLi4EEEEEEEENS5_IJST_SU_SV_SW_SX_SY_SZ_S10_S11_S12_S13_S14_S15_NSS_IJLi15EEEES1C_NSS_IJLi16EEEEEEENS5_IJS17_SX_SY_SZ_S18_S19_S1A_S12_S13_S15_S14_S1B_S1C_NSS_IJLi18EEEENSS_IJLi19ELi20EEEENSS_IJLi21EEEEEEENSS_IJLi18ELi19ELi20ELi21EEEElEENSB_INS5_IJSQ_SO_SO_SQ_SG_SG_S26_S28_EEENS5_IJST_SU_SV_SX_SW_SY_S18_SZ_EEENS5_IJS1I_SW_SX_S1J_S18_NSS_IJLi8EEEENSS_IJLi9ELi10EEEES12_EEENSS_IJLi8ELi9ELi10ELi11EEEElEENS5_IJNSB_INS5_IJSK_SO_SO_NSP_INS5_IJiNS23_IiLi2EEENS23_IiLi64EEEEEELb0EEES2T_EEENS5_IJST_SU_SV_SW_SX_EEENS5_IJS1I_SW_SX_NSS_IJLi5ELi6ELi7EEEENSS_IJLi8ELi9ELi10EEEEEEENSS_IJLi5ELi6ELi7ELi8ELi9ELi10EEEElEEEEES30_NS_31BlockToCTileMap_M00_N00_M01_N01ILi128ELi128ES1R_Lb0EEENS1_30ComputePtrOffsetOfStridedBatchILi1ELi1ELi1EvEELb1ELb1EEEvPKT0_S38_T1_PT2_T3_T4_T5_iT6_T7_T8_T9_T10_T11_
	.p2align	8
	.type	_ZN2ck16tensor_operation6device12_GLOBAL__N_137kernel_grouped_conv_fwd_dl_multiple_dINS_32GridwiseGemmDlMultipleD_km_kn_mnILi256EaiNS_5TupleIJaEEEaNS0_12element_wise11PassThroughES8_NS7_7AddReluELNS_25InMemoryDataOperationEnumE0ENS_16TensorDescriptorINS5_IJNS_5EmbedINS5_IJiiiEEESD_Lb0EEENS_11PassThroughIiEENS_3PadIiiiLb0EEESG_SG_NSC_INS5_IJiiEEESJ_Lb0EEESG_NS_23Merge_v2_magic_divisionISJ_EESM_NS_8RightPadIiiLb0EEESO_NS_7UnMergeISJ_Lb0EEESG_EEENS5_IJNS_8SequenceIJLi0EEEENSS_IJLi1EEEENSS_IJLi2EEEENSS_IJLi3EEEENSS_IJLi4EEEENSS_IJLi5EEEENSS_IJLi6EEEENSS_IJLi7ELi9EEEENSS_IJLi8ELi10EEEENSS_IJLi11EEEENSS_IJLi12EEEENSS_IJLi14EEEENSS_IJLi13EEEEEEENS5_IJNSS_IJLi1ELi2ELi3EEEESX_SY_SZ_NSS_IJLi7EEEENSS_IJLi8ELi9EEEENSS_IJLi10EEEES12_S13_S15_S14_NSS_IJLi15ELi16EEEENSS_IJLi17EEEEEEENSS_IJLi15ELi17ELi16EEEElEENSB_INS5_IJSQ_SO_SO_SQ_SG_EEENS5_IJST_SU_SV_SX_SW_EEENS5_IJNSS_IJLi1ELi2EEEESW_SX_NSS_IJLi5ELi6EEEES18_EEENSS_IJLi5ELi7ELi6EEEElEENSB_INS5_IJSK_SO_SO_EEENS5_IJST_SU_SV_EEENS5_IJS1I_SW_SX_EEENSS_IJLi3ELi4EEEElEELi128ELi128ELi16ELi4ELi4ELi4ELi1ENSS_IJLi8ELi2EEEES1S_NSS_IJLi8ELi1ELi1ELi4EEEENSS_IJLi2ELi1ELi128ELi1EEEENSS_IJLi1ELi2ELi0ELi3EEEES1V_NSS_IJLi4ELi1ELi1ELi4EEEES1V_NSS_IJLi1ELi1ELi1ELi4EEEES1T_S1U_S1V_S1V_S1W_S1V_S1X_NSS_IJLi0ELi1ELi2ELi3ELi4ELi5EEEELi5ELi4EEEaNS5_IJPKaEEEaS8_S8_S9_NSB_INS5_IJSE_SG_SI_SG_SG_SK_SG_SM_SM_SO_SO_SQ_SG_SG_NSP_INS5_IJiNS_17integral_constantIiLi128EEEEEELb0EEENSF_INS23_IiLi4EEEEEEEENS5_IJST_SU_SV_SW_SX_SY_SZ_S10_S11_S12_S13_S14_S15_NSS_IJLi15EEEES1C_NSS_IJLi16EEEEEEENS5_IJS17_SX_SY_SZ_S18_S19_S1A_S12_S13_S15_S14_S1B_S1C_NSS_IJLi18EEEENSS_IJLi19ELi20EEEENSS_IJLi21EEEEEEENSS_IJLi18ELi19ELi20ELi21EEEElEENSB_INS5_IJSQ_SO_SO_SQ_SG_SG_S26_S28_EEENS5_IJST_SU_SV_SX_SW_SY_S18_SZ_EEENS5_IJS1I_SW_SX_S1J_S18_NSS_IJLi8EEEENSS_IJLi9ELi10EEEES12_EEENSS_IJLi8ELi9ELi10ELi11EEEElEENS5_IJNSB_INS5_IJSK_SO_SO_NSP_INS5_IJiNS23_IiLi2EEENS23_IiLi64EEEEEELb0EEES2T_EEENS5_IJST_SU_SV_SW_SX_EEENS5_IJS1I_SW_SX_NSS_IJLi5ELi6ELi7EEEENSS_IJLi8ELi9ELi10EEEEEEENSS_IJLi5ELi6ELi7ELi8ELi9ELi10EEEElEEEEES30_NS_31BlockToCTileMap_M00_N00_M01_N01ILi128ELi128ES1R_Lb0EEENS1_30ComputePtrOffsetOfStridedBatchILi1ELi1ELi1EvEELb1ELb1EEEvPKT0_S38_T1_PT2_T3_T4_T5_iT6_T7_T8_T9_T10_T11_,@function
_ZN2ck16tensor_operation6device12_GLOBAL__N_137kernel_grouped_conv_fwd_dl_multiple_dINS_32GridwiseGemmDlMultipleD_km_kn_mnILi256EaiNS_5TupleIJaEEEaNS0_12element_wise11PassThroughES8_NS7_7AddReluELNS_25InMemoryDataOperationEnumE0ENS_16TensorDescriptorINS5_IJNS_5EmbedINS5_IJiiiEEESD_Lb0EEENS_11PassThroughIiEENS_3PadIiiiLb0EEESG_SG_NSC_INS5_IJiiEEESJ_Lb0EEESG_NS_23Merge_v2_magic_divisionISJ_EESM_NS_8RightPadIiiLb0EEESO_NS_7UnMergeISJ_Lb0EEESG_EEENS5_IJNS_8SequenceIJLi0EEEENSS_IJLi1EEEENSS_IJLi2EEEENSS_IJLi3EEEENSS_IJLi4EEEENSS_IJLi5EEEENSS_IJLi6EEEENSS_IJLi7ELi9EEEENSS_IJLi8ELi10EEEENSS_IJLi11EEEENSS_IJLi12EEEENSS_IJLi14EEEENSS_IJLi13EEEEEEENS5_IJNSS_IJLi1ELi2ELi3EEEESX_SY_SZ_NSS_IJLi7EEEENSS_IJLi8ELi9EEEENSS_IJLi10EEEES12_S13_S15_S14_NSS_IJLi15ELi16EEEENSS_IJLi17EEEEEEENSS_IJLi15ELi17ELi16EEEElEENSB_INS5_IJSQ_SO_SO_SQ_SG_EEENS5_IJST_SU_SV_SX_SW_EEENS5_IJNSS_IJLi1ELi2EEEESW_SX_NSS_IJLi5ELi6EEEES18_EEENSS_IJLi5ELi7ELi6EEEElEENSB_INS5_IJSK_SO_SO_EEENS5_IJST_SU_SV_EEENS5_IJS1I_SW_SX_EEENSS_IJLi3ELi4EEEElEELi128ELi128ELi16ELi4ELi4ELi4ELi1ENSS_IJLi8ELi2EEEES1S_NSS_IJLi8ELi1ELi1ELi4EEEENSS_IJLi2ELi1ELi128ELi1EEEENSS_IJLi1ELi2ELi0ELi3EEEES1V_NSS_IJLi4ELi1ELi1ELi4EEEES1V_NSS_IJLi1ELi1ELi1ELi4EEEES1T_S1U_S1V_S1V_S1W_S1V_S1X_NSS_IJLi0ELi1ELi2ELi3ELi4ELi5EEEELi5ELi4EEEaNS5_IJPKaEEEaS8_S8_S9_NSB_INS5_IJSE_SG_SI_SG_SG_SK_SG_SM_SM_SO_SO_SQ_SG_SG_NSP_INS5_IJiNS_17integral_constantIiLi128EEEEEELb0EEENSF_INS23_IiLi4EEEEEEEENS5_IJST_SU_SV_SW_SX_SY_SZ_S10_S11_S12_S13_S14_S15_NSS_IJLi15EEEES1C_NSS_IJLi16EEEEEEENS5_IJS17_SX_SY_SZ_S18_S19_S1A_S12_S13_S15_S14_S1B_S1C_NSS_IJLi18EEEENSS_IJLi19ELi20EEEENSS_IJLi21EEEEEEENSS_IJLi18ELi19ELi20ELi21EEEElEENSB_INS5_IJSQ_SO_SO_SQ_SG_SG_S26_S28_EEENS5_IJST_SU_SV_SX_SW_SY_S18_SZ_EEENS5_IJS1I_SW_SX_S1J_S18_NSS_IJLi8EEEENSS_IJLi9ELi10EEEES12_EEENSS_IJLi8ELi9ELi10ELi11EEEElEENS5_IJNSB_INS5_IJSK_SO_SO_NSP_INS5_IJiNS23_IiLi2EEENS23_IiLi64EEEEEELb0EEES2T_EEENS5_IJST_SU_SV_SW_SX_EEENS5_IJS1I_SW_SX_NSS_IJLi5ELi6ELi7EEEENSS_IJLi8ELi9ELi10EEEEEEENSS_IJLi5ELi6ELi7ELi8ELi9ELi10EEEElEEEEES30_NS_31BlockToCTileMap_M00_N00_M01_N01ILi128ELi128ES1R_Lb0EEENS1_30ComputePtrOffsetOfStridedBatchILi1ELi1ELi1EvEELb1ELb1EEEvPKT0_S38_T1_PT2_T3_T4_T5_iT6_T7_T8_T9_T10_T11_: ; @_ZN2ck16tensor_operation6device12_GLOBAL__N_137kernel_grouped_conv_fwd_dl_multiple_dINS_32GridwiseGemmDlMultipleD_km_kn_mnILi256EaiNS_5TupleIJaEEEaNS0_12element_wise11PassThroughES8_NS7_7AddReluELNS_25InMemoryDataOperationEnumE0ENS_16TensorDescriptorINS5_IJNS_5EmbedINS5_IJiiiEEESD_Lb0EEENS_11PassThroughIiEENS_3PadIiiiLb0EEESG_SG_NSC_INS5_IJiiEEESJ_Lb0EEESG_NS_23Merge_v2_magic_divisionISJ_EESM_NS_8RightPadIiiLb0EEESO_NS_7UnMergeISJ_Lb0EEESG_EEENS5_IJNS_8SequenceIJLi0EEEENSS_IJLi1EEEENSS_IJLi2EEEENSS_IJLi3EEEENSS_IJLi4EEEENSS_IJLi5EEEENSS_IJLi6EEEENSS_IJLi7ELi9EEEENSS_IJLi8ELi10EEEENSS_IJLi11EEEENSS_IJLi12EEEENSS_IJLi14EEEENSS_IJLi13EEEEEEENS5_IJNSS_IJLi1ELi2ELi3EEEESX_SY_SZ_NSS_IJLi7EEEENSS_IJLi8ELi9EEEENSS_IJLi10EEEES12_S13_S15_S14_NSS_IJLi15ELi16EEEENSS_IJLi17EEEEEEENSS_IJLi15ELi17ELi16EEEElEENSB_INS5_IJSQ_SO_SO_SQ_SG_EEENS5_IJST_SU_SV_SX_SW_EEENS5_IJNSS_IJLi1ELi2EEEESW_SX_NSS_IJLi5ELi6EEEES18_EEENSS_IJLi5ELi7ELi6EEEElEENSB_INS5_IJSK_SO_SO_EEENS5_IJST_SU_SV_EEENS5_IJS1I_SW_SX_EEENSS_IJLi3ELi4EEEElEELi128ELi128ELi16ELi4ELi4ELi4ELi1ENSS_IJLi8ELi2EEEES1S_NSS_IJLi8ELi1ELi1ELi4EEEENSS_IJLi2ELi1ELi128ELi1EEEENSS_IJLi1ELi2ELi0ELi3EEEES1V_NSS_IJLi4ELi1ELi1ELi4EEEES1V_NSS_IJLi1ELi1ELi1ELi4EEEES1T_S1U_S1V_S1V_S1W_S1V_S1X_NSS_IJLi0ELi1ELi2ELi3ELi4ELi5EEEELi5ELi4EEEaNS5_IJPKaEEEaS8_S8_S9_NSB_INS5_IJSE_SG_SI_SG_SG_SK_SG_SM_SM_SO_SO_SQ_SG_SG_NSP_INS5_IJiNS_17integral_constantIiLi128EEEEEELb0EEENSF_INS23_IiLi4EEEEEEEENS5_IJST_SU_SV_SW_SX_SY_SZ_S10_S11_S12_S13_S14_S15_NSS_IJLi15EEEES1C_NSS_IJLi16EEEEEEENS5_IJS17_SX_SY_SZ_S18_S19_S1A_S12_S13_S15_S14_S1B_S1C_NSS_IJLi18EEEENSS_IJLi19ELi20EEEENSS_IJLi21EEEEEEENSS_IJLi18ELi19ELi20ELi21EEEElEENSB_INS5_IJSQ_SO_SO_SQ_SG_SG_S26_S28_EEENS5_IJST_SU_SV_SX_SW_SY_S18_SZ_EEENS5_IJS1I_SW_SX_S1J_S18_NSS_IJLi8EEEENSS_IJLi9ELi10EEEES12_EEENSS_IJLi8ELi9ELi10ELi11EEEElEENS5_IJNSB_INS5_IJSK_SO_SO_NSP_INS5_IJiNS23_IiLi2EEENS23_IiLi64EEEEEELb0EEES2T_EEENS5_IJST_SU_SV_SW_SX_EEENS5_IJS1I_SW_SX_NSS_IJLi5ELi6ELi7EEEENSS_IJLi8ELi9ELi10EEEEEEENSS_IJLi5ELi6ELi7ELi8ELi9ELi10EEEElEEEEES30_NS_31BlockToCTileMap_M00_N00_M01_N01ILi128ELi128ES1R_Lb0EEENS1_30ComputePtrOffsetOfStridedBatchILi1ELi1ELi1EvEELb1ELb1EEEvPKT0_S38_T1_PT2_T3_T4_T5_iT6_T7_T8_T9_T10_T11_
; %bb.0:
	s_add_u32 flat_scratch_lo, s6, s9
	s_addc_u32 flat_scratch_hi, s7, 0
	s_add_u32 s0, s0, s9
	s_addc_u32 s1, s1, 0
	s_mov_b64 s[6:7], s[4:5]
	s_load_dwordx4 s[12:15], s[4:5], 0x0
	s_load_dwordx2 s[58:59], s[4:5], 0x18
	s_load_dword s16, s[4:5], 0x24
	s_load_dwordx8 s[20:27], s[4:5], 0x34
	s_load_dwordx2 s[56:57], s[4:5], 0x60
	s_load_dword s9, s[4:5], 0x70
	s_load_dword s11, s[4:5], 0x78
	;; [unrolled: 1-line block ×6, first 2 shown]
	s_nop 0
	s_load_dword s4, s[4:5], 0xa8
	s_waitcnt lgkmcnt(0)
	s_abs_i32 s17, s16
	v_cvt_f32_u32_e32 v1, s17
	s_load_dword s27, s[6:7], 0xc4
	s_load_dword s81, s[6:7], 0xd0
	s_load_dword s50, s[6:7], 0xe8
	s_load_dword s5, s[6:7], 0xf8
	s_load_dword s83, s[6:7], 0x104
	s_load_dword s67, s[6:7], 0x110
	s_load_dword s75, s[6:7], 0x120
	s_load_dword s18, s[6:7], 0x288
	s_sub_i32 s19, 0, s17
	s_load_dword s54, s[6:7], 0x148
	s_load_dwordx2 s[34:35], s[6:7], 0x158
	s_load_dword s23, s[6:7], 0x164
	s_load_dword s60, s[6:7], 0x170
	v_rcp_iflag_f32_e32 v1, v1
	v_lshrrev_b32_e32 v18, 1, v0
	s_waitcnt lgkmcnt(0)
	s_xor_b32 s16, s18, s16
	s_abs_i32 s18, s18
	v_mul_f32_e32 v1, 0x4f7ffffe, v1
	v_cvt_u32_f32_e32 v1, v1
	s_ashr_i32 s16, s16, 31
	v_mov_b32_e32 v42, 0
	s_load_dword s79, s[6:7], 0xb4
	v_readfirstlane_b32 s28, v1
	s_mul_i32 s19, s19, s28
	s_mul_hi_u32 s19, s28, s19
	s_add_i32 s28, s28, s19
	s_mul_hi_u32 s19, s18, s28
	s_mul_i32 s28, s19, s17
	s_sub_i32 s18, s18, s28
	s_add_i32 s28, s19, 1
	s_sub_i32 s29, s18, s17
	s_cmp_ge_u32 s18, s17
	s_cselect_b32 s19, s28, s19
	s_cselect_b32 s18, s29, s18
	s_add_i32 s28, s19, 1
	s_cmp_ge_u32 s18, s17
	s_cselect_b32 s17, s28, s19
	s_xor_b32 s17, s17, s16
	s_sub_i32 s33, s17, s16
	s_abs_i32 s48, s33
	v_cvt_f32_u32_e32 v1, s48
	s_sub_i32 s52, 0, s48
	s_abs_i32 s49, s8
	s_xor_b32 s33, s8, s33
	v_rcp_iflag_f32_e32 v1, v1
	s_ashr_i32 s33, s33, 31
	s_load_dword s51, s[6:7], 0x204
	s_load_dword s55, s[6:7], 0x214
	s_load_dwordx4 s[16:19], s[6:7], 0x220
	s_load_dwordx4 s[44:47], s[6:7], 0x234
	;; [unrolled: 1-line block ×3, first 2 shown]
	s_load_dwordx8 s[36:43], s[6:7], 0x260
	v_mul_f32_e32 v1, 0x4f7ffffe, v1
	v_cvt_u32_f32_e32 v1, v1
	s_mov_b32 s84, 0x3020104
	s_mov_b32 s82, 0
	;; [unrolled: 1-line block ×3, first 2 shown]
	v_readfirstlane_b32 s53, v1
	s_mul_i32 s52, s52, s53
	s_mul_hi_u32 s52, s53, s52
	s_add_i32 s53, s53, s52
	s_mul_hi_u32 s52, s49, s53
	s_mul_i32 s53, s52, s48
	s_sub_i32 s49, s49, s53
	s_add_i32 s53, s52, 1
	s_sub_i32 s61, s49, s48
	s_cmp_ge_u32 s49, s48
	s_cselect_b32 s52, s53, s52
	s_cselect_b32 s49, s61, s49
	s_add_i32 s53, s52, 1
	s_cmp_ge_u32 s49, s48
	s_cselect_b32 s48, s53, s52
	s_xor_b32 s48, s48, s33
	s_sub_i32 s76, s48, s33
	s_ashr_i32 s77, s76, 31
	s_waitcnt lgkmcnt(0)
	s_mul_i32 s33, s36, s77
	s_mul_hi_u32 s48, s36, s76
	s_add_i32 s33, s48, s33
	s_mul_i32 s37, s37, s76
	s_add_i32 s33, s33, s37
	s_mul_i32 s37, s38, s77
	s_mul_hi_u32 s48, s38, s76
	s_add_i32 s37, s48, s37
	s_mul_i32 s39, s39, s76
	s_add_i32 s39, s37, s39
	s_mul_i32 s37, s42, s77
	s_mul_hi_u32 s48, s42, s76
	s_add_i32 s37, s48, s37
	s_mul_i32 s43, s43, s76
	s_mul_i32 s36, s36, s76
	s_add_i32 s37, s37, s43
	s_add_u32 s48, s12, s36
	s_mul_i32 s38, s38, s76
	s_addc_u32 s49, s13, s33
	s_add_u32 s52, s14, s38
	s_mul_hi_u32 s12, s47, s8
	s_addc_u32 s53, s15, s39
	s_load_dwordx2 s[38:39], s[6:7], 0x1e8
	s_add_i32 s12, s8, s12
	s_lshr_b32 s12, s12, s31
	s_mul_i32 s13, s12, s19
	s_sub_i32 s8, s8, s13
	s_mul_hi_u32 s13, s12, s46
	s_add_i32 s13, s12, s13
	s_lshr_b32 s13, s13, s30
	s_mul_i32 s14, s13, s18
	s_sub_i32 s61, s12, s14
	s_mul_hi_u32 s12, s13, s45
	;; [unrolled: 5-line block ×3, first 2 shown]
	s_add_i32 s14, s12, s14
	v_lshlrev_b32_e32 v1, 3, v0
	s_lshr_b32 s14, s14, s28
	v_and_b32_e32 v19, 8, v1
	s_mul_i32 s14, s14, s16
	v_mul_lo_u32 v21, s27, v19
	s_sub_i32 s12, s12, s14
	v_mul_hi_u32 v1, v21, s70
	s_mul_i32 s12, s12, s51
	v_add_u32_e32 v1, v21, v1
	s_add_i32 s61, s61, s12
	v_lshrrev_b32_e32 v4, s69, v1
	v_lshl_or_b32 v20, s61, 7, v18
	v_mul_lo_u32 v1, v4, s68
	v_sub_u32_e32 v5, v21, v1
	v_mul_hi_u32 v1, v20, s11
	v_add_u32_e32 v1, v20, v1
	v_lshrrev_b32_e32 v1, s10, v1
	v_mul_lo_u32 v2, v1, s9
	v_sub_u32_e32 v3, v20, v2
	v_mul_lo_u32 v2, v4, s56
	v_mad_u64_u32 v[16:17], s[10:11], v3, s57, v[2:3]
	v_subrev_u32_e32 v2, s25, v16
	v_mul_lo_u32 v1, v1, s20
	v_mul_lo_u32 v2, v2, s21
	;; [unrolled: 1-line block ×3, first 2 shown]
	v_add3_u32 v6, v1, v3, v2
	v_lshrrev_b32_e32 v1, 5, v0
	v_lshlrev_b32_e32 v3, 1, v0
	v_lshlrev_b32_e32 v2, 6, v1
	v_and_b32_e32 v7, 0x1f8, v3
	v_sub_u32_e32 v2, v7, v2
	v_lshlrev_b32_e32 v0, 2, v0
	v_and_or_b32 v35, v0, 4, v2
	v_and_b32_e32 v0, 0x1fc, v3
	v_sub_u32_e32 v0, v0, v7
	v_lshl_add_u32 v38, v1, 3, v0
	s_lshl_b32 s80, s27, 2
	v_lshlrev_b32_e32 v0, 2, v38
	v_add_u32_e32 v40, s80, v21
	buffer_store_dword v42, off, s[0:3], 0 offset:64
	buffer_store_dword v38, off, s[0:3], 0 offset:68
	;; [unrolled: 1-line block ×12, first 2 shown]
	v_lshlrev_b32_e32 v0, 2, v35
	s_mov_b64 s[10:11], src_shared_base
	v_mul_hi_u32 v7, v40, s70
	buffer_store_dword v0, off, s[0:3], 0 offset:112
	buffer_store_dword v42, off, s[0:3], 0 offset:116
	;; [unrolled: 1-line block ×72, first 2 shown]
	v_mov_b32_e32 v0, s11
	v_mov_b32_e32 v1, 0x4000
	v_add_u32_e32 v7, v40, v7
	buffer_store_dword v0, off, s[0:3], 0 offset:404
	buffer_store_dword v42, off, s[0:3], 0 offset:400
	buffer_store_byte v42, off, s[0:3], 0 offset:409
	buffer_store_dword v0, off, s[0:3], 0 offset:420
	buffer_store_dword v1, off, s[0:3], 0 offset:416
	buffer_store_byte v42, off, s[0:3], 0 offset:425
	buffer_store_dword v0, off, s[0:3], 0 offset:436
	v_mov_b32_e32 v1, 0x2000
	v_lshrrev_b32_e32 v37, s69, v7
	buffer_store_dword v1, off, s[0:3], 0 offset:432
	buffer_store_byte v42, off, s[0:3], 0 offset:441
	buffer_store_dword v0, off, s[0:3], 0 offset:452
	v_mov_b32_e32 v0, 0x6000
	v_mul_lo_u32 v7, v37, s68
	buffer_store_dword v0, off, s[0:3], 0 offset:448
	buffer_store_byte v42, off, s[0:3], 0 offset:457
	s_mov_b32 s51, 0x20000
	v_sub_u32_e32 v36, v40, v7
	v_sub_u32_e32 v4, v37, v4
	s_mul_i32 s13, s13, s55
	buffer_load_dwordx4 v[0:3], v6, s[48:51], 0 offen
	v_sub_u32_e32 v5, v36, v5
	v_mul_lo_u32 v17, v4, s56
	v_mul_lo_u32 v4, v17, s21
	;; [unrolled: 1-line block ×3, first 2 shown]
	s_add_i32 s57, s8, s13
	v_add3_u32 v57, v5, v4, v6
	v_lshl_or_b32 v22, s57, 7, v18
	buffer_load_dwordx4 v[4:7], v57, s[48:51], 0 offen
	v_mul_lo_u32 v23, s75, v19
	v_mul_lo_u32 v41, v22, s5
	v_add_u32_e32 v12, v41, v23
	s_mov_b32 s55, s51
	buffer_load_dwordx4 v[8:11], v12, s[52:55], 0 offen
	s_lshl_b32 s78, s75, 2
	v_add_u32_e32 v12, s78, v12
	buffer_load_dwordx4 v[12:15], v12, s[52:55], 0 offen
	s_sub_i32 s24, s24, s26
	v_cmp_gt_i32_e64 s[8:9], s4, v20
	v_cmp_le_i32_e64 s[4:5], s25, v16
	v_cmp_gt_i32_e64 s[10:11], s24, v16
	v_cmp_gt_i32_e32 vcc, s79, v21
	s_and_b64 s[4:5], s[4:5], s[10:11]
	s_and_b64 s[4:5], vcc, s[4:5]
	v_add_u32_e32 v56, v16, v17
	s_and_b64 vcc, s[8:9], s[4:5]
	v_cmp_le_i32_e64 s[4:5], s25, v56
	v_cmp_gt_i32_e64 s[10:11], s24, v56
	s_and_b64 s[4:5], s[4:5], s[10:11]
	v_lshlrev_b32_e32 v18, 2, v18
	v_lshl_or_b32 v34, v19, 9, v18
	s_load_dwordx2 s[46:47], s[6:7], 0x198
	s_load_dwordx2 s[28:29], s[6:7], 0x1a8
	s_load_dword s20, s[6:7], 0x1b4
	s_load_dword s33, s[6:7], 0x1c0
	v_cmp_gt_i32_e64 s[10:11], s83, v22
	v_add_u32_e32 v39, s78, v23
	s_mul_i32 s36, s42, s76
	s_mov_b64 s[42:43], src_private_base
	s_mov_b32 s44, s21
	s_mov_b32 s45, s22
	s_movk_i32 s42, 0x90
	s_waitcnt lgkmcnt(0)
	s_mov_b32 s47, s43
	s_movk_i32 s73, 0x190
	s_mov_b32 s74, s43
	s_movk_i32 s72, 0x1a0
	;; [unrolled: 2-line block ×4, first 2 shown]
	s_mov_b32 s63, s43
	s_mov_b32 s85, 0
	;; [unrolled: 1-line block ×5, first 2 shown]
	s_sub_i32 s89, s81, 32
	s_mul_i32 s83, s27, 12
	s_lshl_b32 s90, s75, 5
	s_lshl_b32 s91, s27, 5
	s_sub_i32 s92, 0, s68
	s_mov_b32 s81, 0
	v_mov_b32_e32 v55, v40
	s_mov_b32 s93, 0
	s_movk_i32 s32, 0x7800
	s_waitcnt vmcnt(3)
	v_cndmask_b32_e32 v3, 0, v3, vcc
	v_cndmask_b32_e32 v2, 0, v2, vcc
	;; [unrolled: 1-line block ×4, first 2 shown]
	v_cmp_gt_i32_e32 vcc, s79, v40
	s_and_b64 s[4:5], vcc, s[4:5]
	s_and_b64 vcc, s[8:9], s[4:5]
	v_perm_b32 v0, v0, v0, s84
	s_waitcnt vmcnt(2)
	v_cndmask_b32_e32 v7, 0, v7, vcc
	v_cndmask_b32_e32 v6, 0, v6, vcc
	;; [unrolled: 1-line block ×4, first 2 shown]
	v_cmp_gt_i32_e32 vcc, s67, v23
	ds_write2st64_b32 v34, v0, v1 offset1:2
	v_perm_b32 v0, v2, v2, s84
	s_and_b64 vcc, vcc, s[10:11]
	ds_write2st64_b32 v34, v0, v3 offset0:4 offset1:6
	v_perm_b32 v0, v4, v4, s84
	s_waitcnt vmcnt(1)
	v_cndmask_b32_e32 v11, 0, v11, vcc
	v_cndmask_b32_e32 v10, 0, v10, vcc
	;; [unrolled: 1-line block ×4, first 2 shown]
	v_cmp_gt_i32_e32 vcc, s67, v39
	ds_write2st64_b32 v34, v0, v5 offset0:8 offset1:10
	v_perm_b32 v0, v6, v6, s84
	s_and_b64 vcc, vcc, s[10:11]
	ds_write2st64_b32 v34, v0, v7 offset0:12 offset1:14
	v_perm_b32 v0, v8, v8, s84
	s_waitcnt vmcnt(0)
	v_cndmask_b32_e32 v12, 0, v12, vcc
	ds_write2st64_b32 v34, v0, v9 offset0:64 offset1:66
	v_perm_b32 v0, v10, v10, s84
	v_cndmask_b32_e32 v14, 0, v14, vcc
	v_cndmask_b32_e32 v13, 0, v13, vcc
	ds_write2st64_b32 v34, v0, v11 offset0:68 offset1:70
	v_perm_b32 v0, v12, v12, s84
	v_cndmask_b32_e32 v15, 0, v15, vcc
	ds_write2st64_b32 v34, v0, v13 offset0:72 offset1:74
	v_perm_b32 v0, v14, v14, s84
	ds_write2st64_b32 v34, v0, v15 offset0:76 offset1:78
	v_or_b32_e32 v0, 36, v19
	v_or_b32_e32 v1, 32, v19
	v_or_b32_e32 v2, 20, v19
	v_or_b32_e32 v3, 16, v19
	v_mul_lo_u32 v47, s27, v3
	v_mul_lo_u32 v48, s27, v2
	;; [unrolled: 1-line block ×8, first 2 shown]
	v_mov_b32_e32 v51, v50
	v_mov_b32_e32 v52, v49
	;; [unrolled: 1-line block ×4, first 2 shown]
.LBB2_1:                                ; =>This Inner Loop Header: Depth=1
	v_mul_hi_u32 v0, s70, v54
	v_add_u32_e32 v17, s82, v47
	v_add_u32_e32 v0, v17, v0
	v_mul_hi_u32 v1, s70, v53
	v_lshrrev_b32_e32 v0, s69, v0
	v_add_u32_e32 v16, s82, v48
	v_mul_lo_u32 v2, s92, v0
	v_add_u32_e32 v1, v16, v1
	v_add_u32_e32 v3, v17, v2
	v_sub_u32_e32 v2, v2, v36
	v_sub_u32_e32 v4, v0, v37
	v_lshrrev_b32_e32 v58, s69, v1
	v_add_u32_e32 v2, v17, v2
	v_mul_lo_u32 v32, v4, s56
	v_mad_u64_u32 v[36:37], s[4:5], s92, v58, v[16:17]
	v_sub_u32_e32 v0, v58, v0
	v_mul_lo_u32 v4, v32, s44
	v_mul_lo_u32 v2, v2, s45
	v_sub_u32_e32 v1, v36, v3
	v_mul_lo_u32 v33, v0, s56
	v_add3_u32 v2, v4, v57, v2
	v_add_u32_e32 v8, v46, v41
	v_mul_lo_u32 v0, v33, s21
	v_mul_lo_u32 v1, v1, s22
	v_add_u32_e32 v9, v45, v41
	v_add3_u32 v57, v2, v0, v1
	buffer_load_dwordx4 v[0:3], v2, s[48:51], 0 offen
	s_nop 0
	buffer_load_dwordx4 v[4:7], v57, s[48:51], 0 offen
	buffer_load_dwordx4 v[12:15], v8, s[52:55], 0 offen
	s_nop 0
	buffer_load_dwordx4 v[8:11], v9, s[52:55], 0 offen
	s_waitcnt lgkmcnt(0)
	s_barrier
	buffer_load_dword v18, off, s[0:3], 0 offset:80
	buffer_load_dword v19, off, s[0:3], 0 offset:400
	;; [unrolled: 1-line block ×3, first 2 shown]
	s_nop 0
	buffer_store_dword v42, off, s[0:3], 0
	buffer_store_dword v42, off, s[0:3], 0 offset:4
	buffer_store_dword v42, off, s[0:3], 0 offset:8
	;; [unrolled: 1-line block ×15, first 2 shown]
	buffer_load_dword v22, off, s[0:3], 0 offset:112
	buffer_load_dword v23, off, s[0:3], 0 offset:416
	;; [unrolled: 1-line block ×13, first 2 shown]
	v_cmp_gt_i32_e64 s[4:5], s79, v16
	v_add_u32_e32 v16, v32, v56
	v_add_u32_e32 v92, s81, v46
	s_getpc_b64 s[26:27]
	s_add_u32 s26, s26, _ZNK2ck6detail15static_for_implINS_8SequenceIJLi1ELi2ELi3ELi4ELi5ELi6ELi7ELi8ELi9ELi10ELi11ELi12ELi13ELi14ELi15EEEEEclIZNKS_80BlockwiseGemmDl_A_BK0_BM_BK1_B_BK0_BN_BK1_C_BM0_BM1_BN0_BN1_pipeline_BM0_2_BN0_2ILi256EaaiKNS_16TensorDescriptorINS_5TupleIJNS_5EmbedINS8_IJNS_17integral_constantIiLi16EEENSA_IiLi128EEENSA_IiLi4EEEEEENS8_IJNSA_IiLi512EEESD_NSA_IiLi1EEEEEELb0EEEEEENS8_IJNS2_IJLi0EEEEEEENS8_IJNS2_IJLi1ELi2ELi3EEEEEEESM_NSA_IlLl8192EEEEESQ_Li4ELi4ELi1ENS2_IJLi8ELi2EEEESR_Li4ELi4ELb0EE3RunINS7_INS8_IJNS_7UnMergeINS8_IJNSA_IiLi2EEESD_SV_SD_EEELb0EEEEEESL_NS8_IJNS2_IJLi1ELi2ELi3ELi4EEEEEEESZ_NSA_IlLl64EEEEENS_13DynamicBufferILNS_16AddressSpaceEnumE2EaSO_Lb1ELNS_22AmdBufferCoherenceEnumE0EiEES16_NS_12StaticBufferILS14_4EiLi64ELb1EEEEEvRKT_RKT0_RKT1_RT2_EUlS19_E_EEvS19_@rel32@lo+4
	s_addc_u32 s27, s27, _ZNK2ck6detail15static_for_implINS_8SequenceIJLi1ELi2ELi3ELi4ELi5ELi6ELi7ELi8ELi9ELi10ELi11ELi12ELi13ELi14ELi15EEEEEclIZNKS_80BlockwiseGemmDl_A_BK0_BM_BK1_B_BK0_BN_BK1_C_BM0_BM1_BN0_BN1_pipeline_BM0_2_BN0_2ILi256EaaiKNS_16TensorDescriptorINS_5TupleIJNS_5EmbedINS8_IJNS_17integral_constantIiLi16EEENSA_IiLi128EEENSA_IiLi4EEEEEENS8_IJNSA_IiLi512EEESD_NSA_IiLi1EEEEEELb0EEEEEENS8_IJNS2_IJLi0EEEEEEENS8_IJNS2_IJLi1ELi2ELi3EEEEEEESM_NSA_IlLl8192EEEEESQ_Li4ELi4ELi1ENS2_IJLi8ELi2EEEESR_Li4ELi4ELb0EE3RunINS7_INS8_IJNS_7UnMergeINS8_IJNSA_IiLi2EEESD_SV_SD_EEELb0EEEEEESL_NS8_IJNS2_IJLi1ELi2ELi3ELi4EEEEEEESZ_NSA_IlLl64EEEEENS_13DynamicBufferILNS_16AddressSpaceEnumE2EaSO_Lb1ELNS_22AmdBufferCoherenceEnumE0EiEES16_NS_12StaticBufferILS14_4EiLi64ELb1EEEEEvRKT_RKT0_RKT1_RT2_EUlS19_E_EEvS19_@rel32@hi+12
	v_cmp_le_i32_e64 s[16:17], s25, v16
	v_cmp_gt_i32_e64 s[18:19], s24, v16
	v_cmp_gt_i32_e64 s[12:13], s67, v92
	s_and_b64 s[30:31], s[16:17], s[18:19]
	v_add_u32_e32 v93, s81, v45
	v_cmp_gt_i32_e64 s[14:15], s67, v93
	v_add_u32_e32 v56, v33, v16
	v_cmp_le_i32_e64 s[16:17], s25, v56
	v_cmp_gt_i32_e64 s[18:19], s24, v56
	s_and_b64 s[16:17], s[16:17], s[18:19]
	s_and_b64 s[4:5], s[4:5], s[16:17]
	v_mul_hi_u32 v90, s70, v52
	v_mul_hi_u32 v91, s70, v51
	s_waitcnt vmcnt(0)
	v_ashrrev_i32_e32 v25, 31, v22
	v_ashrrev_i32_e32 v21, 31, v18
	v_add_co_u32_e32 v30, vcc, v19, v18
	v_addc_co_u32_e32 v31, vcc, v20, v21, vcc
	flat_load_dwordx4 v[18:21], v[30:31]
	s_waitcnt vmcnt(0)
	v_add_co_u32_e32 v26, vcc, v23, v22
	buffer_load_dword v68, off, s[0:3], 0 offset:212
	buffer_load_dword v69, off, s[0:3], 0 offset:192
	;; [unrolled: 1-line block ×6, first 2 shown]
	v_addc_co_u32_e32 v27, vcc, v24, v25, vcc
	v_cmp_gt_i32_e32 vcc, s79, v17
	s_and_b64 s[30:31], vcc, s[30:31]
	s_and_b64 vcc, s[10:11], s[12:13]
	v_cndmask_b32_e32 v92, 0, v15, vcc
	v_cndmask_b32_e32 v93, 0, v14, vcc
	v_cndmask_b32_e32 v94, 0, v13, vcc
	v_cndmask_b32_e32 v95, 0, v12, vcc
	s_and_b64 vcc, s[10:11], s[14:15]
	v_cndmask_b32_e32 v96, 0, v11, vcc
	v_cndmask_b32_e32 v97, 0, v10, vcc
	v_cndmask_b32_e32 v98, 0, v9, vcc
	v_cndmask_b32_e32 v99, 0, v8, vcc
	;; [unrolled: 5-line block ×4, first 2 shown]
	v_mov_b32_e32 v0, s64
	v_mov_b32_e32 v1, s43
	;; [unrolled: 1-line block ×12, first 2 shown]
	s_waitcnt lgkmcnt(0)
	buffer_store_dword v18, off, s[0:3], 0
	buffer_store_dword v19, off, s[0:3], 0 offset:4
	buffer_store_dword v20, off, s[0:3], 0 offset:8
	;; [unrolled: 1-line block ×3, first 2 shown]
	flat_load_dwordx4 v[22:25], v[26:27]
	s_waitcnt vmcnt(0) lgkmcnt(0)
	buffer_store_dword v22, off, s[0:3], 0 offset:32
	buffer_store_dword v23, off, s[0:3], 0 offset:36
	buffer_store_dword v24, off, s[0:3], 0 offset:40
	buffer_store_dword v25, off, s[0:3], 0 offset:44
	flat_load_dwordx4 v[26:29], v[26:27] offset:256
	s_nop 0
	buffer_load_dword v74, off, s[0:3], 0 offset:176
	buffer_load_dword v75, off, s[0:3], 0 offset:208
	;; [unrolled: 1-line block ×16, first 2 shown]
	v_dot4c_i32_i8_e32 v61, v18, v22
	v_dot4c_i32_i8_e32 v37, v18, v23
	;; [unrolled: 1-line block ×8, first 2 shown]
	s_waitcnt vmcnt(0) lgkmcnt(0)
	buffer_store_dword v26, off, s[0:3], 0 offset:48
	buffer_store_dword v27, off, s[0:3], 0 offset:52
	;; [unrolled: 1-line block ×4, first 2 shown]
	flat_load_dwordx4 v[12:15], v[30:31] offset:256
	v_dot4c_i32_i8_e32 v74, v19, v22
	v_dot4c_i32_i8_e32 v75, v20, v22
	;; [unrolled: 1-line block ×24, first 2 shown]
	buffer_store_dword v61, off, s[0:3], 0 offset:144
	buffer_store_dword v37, off, s[0:3], 0 offset:148
	;; [unrolled: 1-line block ×32, first 2 shown]
	s_waitcnt vmcnt(0) lgkmcnt(0)
	buffer_store_dword v12, off, s[0:3], 0 offset:16
	buffer_store_dword v13, off, s[0:3], 0 offset:20
	;; [unrolled: 1-line block ×4, first 2 shown]
	s_swappc_b64 s[30:31], s[26:27]
	buffer_load_dword v0, off, s[0:3], 0 offset:32
	buffer_load_dword v1, off, s[0:3], 0 offset:36
	;; [unrolled: 1-line block ×46, first 2 shown]
	s_waitcnt vmcnt(39)
	v_dot4c_i32_i8_e32 v6, v4, v0
	s_waitcnt vmcnt(38)
	v_dot4c_i32_i8_e32 v7, v4, v1
	;; [unrolled: 2-line block ×15, first 2 shown]
	v_perm_b32 v2, v103, v103, s84
	s_waitcnt vmcnt(22)
	v_dot4c_i32_i8_e32 v23, v19, v3
	v_perm_b32 v3, v93, v93, s84
	s_waitcnt vmcnt(17)
	v_dot4c_i32_i8_e32 v28, v4, v24
	s_waitcnt vmcnt(16)
	v_dot4c_i32_i8_e32 v29, v4, v27
	;; [unrolled: 2-line block ×16, first 2 shown]
	buffer_store_dword v6, off, s[0:3], 0 offset:272
	buffer_store_dword v7, off, s[0:3], 0 offset:276
	;; [unrolled: 1-line block ×18, first 2 shown]
	s_waitcnt vmcnt(18)
	v_add_co_u32_e32 v0, vcc, v69, v34
	v_addc_co_u32_e32 v1, vcc, 0, v68, vcc
	buffer_store_dword v30, off, s[0:3], 0 offset:296
	buffer_store_dword v31, off, s[0:3], 0 offset:300
	;; [unrolled: 1-line block ×14, first 2 shown]
	flat_store_dword v[0:1], v2
	flat_store_dword v[0:1], v102 offset:512
	v_perm_b32 v2, v101, v101, s84
	flat_store_dword v[0:1], v2 offset:1024
	flat_store_dword v[0:1], v100 offset:1536
	v_perm_b32 v2, v107, v107, s84
	flat_store_dword v[0:1], v2 offset:2048
	;; [unrolled: 3-line block ×3, first 2 shown]
	flat_store_dword v[0:1], v104 offset:3584
	buffer_load_dword v17, off, s[0:3], 0 offset:448
	buffer_load_dword v22, off, s[0:3], 0 offset:452
	v_add_u32_e32 v16, s82, v49
	v_add_u32_e32 v32, s82, v50
	;; [unrolled: 1-line block ×4, first 2 shown]
	v_lshrrev_b32_e32 v6, s69, v0
	v_lshrrev_b32_e32 v37, s69, v1
	v_perm_b32 v2, v95, v95, s84
	v_perm_b32 v4, v99, v99, s84
	;; [unrolled: 1-line block ×3, first 2 shown]
	v_add_u32_e32 v8, v44, v41
	v_add_u32_e32 v91, s81, v43
	v_cmp_gt_i32_e64 s[14:15], s67, v91
	s_waitcnt vmcnt(0)
	v_mad_u64_u32 v[0:1], s[4:5], s92, v6, v[16:17]
	v_sub_u32_e32 v1, v6, v58
	v_mul_lo_u32 v58, s92, v37
	v_mul_lo_u32 v33, v1, s56
	v_add_u32_e32 v1, v32, v58
	v_sub_u32_e32 v6, v37, v6
	v_sub_u32_e32 v7, v0, v36
	;; [unrolled: 1-line block ×3, first 2 shown]
	v_add_co_u32_e32 v0, vcc, v17, v34
	v_mul_lo_u32 v9, v33, s21
	v_mul_lo_u32 v7, v7, s22
	v_addc_co_u32_e32 v1, vcc, 0, v22, vcc
	v_mul_lo_u32 v59, v6, s56
	v_add3_u32 v7, v7, v9, v57
	flat_store_dword v[0:1], v2
	flat_store_dword v[0:1], v94 offset:512
	flat_store_dword v[0:1], v3 offset:1024
	;; [unrolled: 1-line block ×7, first 2 shown]
	v_mul_lo_u32 v0, v59, s21
	v_mul_lo_u32 v1, v10, s22
	v_add_u32_e32 v9, v43, v41
	v_add3_u32 v57, v1, v0, v7
	buffer_load_dwordx4 v[4:7], v7, s[48:51], 0 offen
	s_nop 0
	buffer_load_dwordx4 v[0:3], v57, s[48:51], 0 offen
	buffer_load_dwordx4 v[12:15], v8, s[52:55], 0 offen
	s_nop 0
	buffer_load_dwordx4 v[8:11], v9, s[52:55], 0 offen
	s_waitcnt lgkmcnt(0)
	s_barrier
	buffer_load_dword v18, off, s[0:3], 0 offset:80
	s_nop 0
	buffer_store_dword v42, off, s[0:3], 0
	buffer_store_dword v42, off, s[0:3], 0 offset:4
	buffer_store_dword v42, off, s[0:3], 0 offset:8
	;; [unrolled: 1-line block ×15, first 2 shown]
	buffer_load_dword v23, off, s[0:3], 0 offset:112
	buffer_load_dword v60, off, s[0:3], 0 offset:160
	;; [unrolled: 1-line block ×5, first 2 shown]
	s_add_i32 s4, s80, s83
	s_add_i32 s16, s4, s4
	v_add_u32_e32 v36, s81, v44
	v_add_u32_e32 v55, s16, v55
	v_cmp_gt_i32_e64 s[12:13], s67, v36
	v_cmp_gt_i32_e64 s[4:5], s79, v32
	s_waitcnt vmcnt(0)
	v_ashrrev_i32_e32 v24, 31, v23
	v_ashrrev_i32_e32 v19, 31, v18
	v_add_co_u32_e32 v30, vcc, v69, v18
	v_addc_co_u32_e32 v31, vcc, v68, v19, vcc
	flat_load_dwordx4 v[18:21], v[30:31]
	v_add_co_u32_e32 v26, vcc, v17, v23
	buffer_load_dword v64, off, s[0:3], 0 offset:192
	buffer_load_dword v65, off, s[0:3], 0 offset:196
	;; [unrolled: 1-line block ×3, first 2 shown]
	v_addc_co_u32_e32 v27, vcc, v22, v24, vcc
	v_cmp_gt_i32_e32 vcc, s79, v16
	v_mul_lo_u32 v16, v37, s68
	v_sub_u32_e32 v36, v55, v16
	v_add_u32_e32 v16, v33, v56
	v_cmp_le_i32_e64 s[16:17], s25, v16
	v_cmp_gt_i32_e64 s[18:19], s24, v16
	s_and_b64 s[30:31], s[16:17], s[18:19]
	s_and_b64 s[30:31], vcc, s[30:31]
	s_and_b64 vcc, s[8:9], s[30:31]
	v_add_u32_e32 v56, v59, v16
	v_cndmask_b32_e32 v59, 0, v7, vcc
	v_cndmask_b32_e32 v91, 0, v6, vcc
	v_cndmask_b32_e32 v92, 0, v5, vcc
	v_cndmask_b32_e32 v93, 0, v4, vcc
	v_cmp_le_i32_e64 s[16:17], s25, v56
	v_cmp_gt_i32_e64 s[18:19], s24, v56
	s_and_b64 s[16:17], s[16:17], s[18:19]
	s_and_b64 s[4:5], s[4:5], s[16:17]
	s_and_b64 vcc, s[8:9], s[4:5]
	v_cndmask_b32_e32 v94, 0, v3, vcc
	v_cndmask_b32_e32 v95, 0, v2, vcc
	;; [unrolled: 1-line block ×4, first 2 shown]
	s_and_b64 vcc, s[10:11], s[12:13]
	v_cndmask_b32_e32 v98, 0, v15, vcc
	v_cndmask_b32_e32 v99, 0, v14, vcc
	;; [unrolled: 1-line block ×4, first 2 shown]
	s_and_b64 vcc, s[10:11], s[14:15]
	v_cndmask_b32_e32 v102, 0, v11, vcc
	v_cndmask_b32_e32 v103, 0, v10, vcc
	;; [unrolled: 1-line block ×3, first 2 shown]
	s_waitcnt vmcnt(0) lgkmcnt(0)
	buffer_store_dword v18, off, s[0:3], 0
	buffer_store_dword v19, off, s[0:3], 0 offset:4
	buffer_store_dword v20, off, s[0:3], 0 offset:8
	;; [unrolled: 1-line block ×3, first 2 shown]
	flat_load_dwordx4 v[22:25], v[26:27]
	v_cndmask_b32_e32 v105, 0, v8, vcc
	v_mov_b32_e32 v0, s64
	v_mov_b32_e32 v1, s43
	;; [unrolled: 1-line block ×8, first 2 shown]
	s_waitcnt vmcnt(0) lgkmcnt(0)
	buffer_store_dword v22, off, s[0:3], 0 offset:32
	buffer_store_dword v23, off, s[0:3], 0 offset:36
	;; [unrolled: 1-line block ×4, first 2 shown]
	flat_load_dwordx4 v[26:29], v[26:27] offset:256
	s_nop 0
	buffer_load_dword v17, off, s[0:3], 0 offset:144
	buffer_load_dword v67, off, s[0:3], 0 offset:148
	;; [unrolled: 1-line block ×25, first 2 shown]
	v_dot4c_i32_i8_e32 v63, v18, v25
	v_dot4c_i32_i8_e32 v66, v19, v25
	s_waitcnt vmcnt(0) lgkmcnt(0)
	buffer_store_dword v26, off, s[0:3], 0 offset:48
	buffer_store_dword v27, off, s[0:3], 0 offset:52
	;; [unrolled: 1-line block ×4, first 2 shown]
	flat_load_dwordx4 v[4:7], v[30:31] offset:256
	v_dot4c_i32_i8_e32 v17, v18, v22
	v_dot4c_i32_i8_e32 v67, v18, v23
	;; [unrolled: 1-line block ×30, first 2 shown]
	buffer_store_dword v17, off, s[0:3], 0 offset:144
	buffer_store_dword v67, off, s[0:3], 0 offset:148
	;; [unrolled: 1-line block ×32, first 2 shown]
	s_waitcnt vmcnt(0) lgkmcnt(0)
	buffer_store_dword v4, off, s[0:3], 0 offset:16
	buffer_store_dword v5, off, s[0:3], 0 offset:20
	;; [unrolled: 1-line block ×4, first 2 shown]
	v_mov_b32_e32 v4, s85
	v_mov_b32_e32 v5, s86
	;; [unrolled: 1-line block ×4, first 2 shown]
	s_swappc_b64 s[30:31], s[26:27]
	buffer_load_dword v2, off, s[0:3], 0 offset:32
	buffer_load_dword v3, off, s[0:3], 0 offset:36
	;; [unrolled: 1-line block ×46, first 2 shown]
	s_add_i32 s93, s93, 32
	s_add_i32 s81, s81, s90
	s_add_i32 s82, s82, s91
	v_add_u32_e32 v41, s90, v41
	v_add_u32_e32 v54, s91, v54
	;; [unrolled: 1-line block ×4, first 2 shown]
	s_cmp_lt_i32 s93, s89
	v_add_u32_e32 v51, s91, v51
	s_waitcnt vmcnt(39)
	v_dot4c_i32_i8_e32 v8, v6, v2
	s_waitcnt vmcnt(38)
	v_dot4c_i32_i8_e32 v9, v6, v3
	;; [unrolled: 2-line block ×15, first 2 shown]
	v_perm_b32 v4, v93, v93, s84
	s_waitcnt vmcnt(22)
	v_dot4c_i32_i8_e32 v25, v21, v5
	s_waitcnt vmcnt(17)
	v_dot4c_i32_i8_e32 v30, v6, v26
	;; [unrolled: 2-line block ×17, first 2 shown]
	buffer_store_dword v8, off, s[0:3], 0 offset:272
	buffer_store_dword v9, off, s[0:3], 0 offset:276
	;; [unrolled: 1-line block ×18, first 2 shown]
	s_waitcnt vmcnt(18)
	v_add_co_u32_e32 v2, vcc, v1, v34
	v_addc_co_u32_e32 v3, vcc, 0, v0, vcc
	buffer_store_dword v32, off, s[0:3], 0 offset:296
	buffer_store_dword v33, off, s[0:3], 0 offset:300
	;; [unrolled: 1-line block ×14, first 2 shown]
	flat_store_dword v[2:3], v4
	flat_store_dword v[2:3], v92 offset:512
	v_perm_b32 v4, v91, v91, s84
	flat_store_dword v[2:3], v4 offset:1024
	flat_store_dword v[2:3], v59 offset:1536
	v_perm_b32 v4, v97, v97, s84
	flat_store_dword v[2:3], v4 offset:2048
	;; [unrolled: 3-line block ×3, first 2 shown]
	flat_store_dword v[2:3], v94 offset:3584
	buffer_load_dword v2, off, s[0:3], 0 offset:416
	s_nop 0
	buffer_load_dword v3, off, s[0:3], 0 offset:420
	v_perm_b32 v6, v101, v101, s84
	v_perm_b32 v7, v99, v99, s84
	;; [unrolled: 1-line block ×4, first 2 shown]
	s_waitcnt vmcnt(0)
	v_add_co_u32_e32 v4, vcc, v2, v34
	v_addc_co_u32_e32 v5, vcc, 0, v3, vcc
	flat_store_dword v[4:5], v6
	flat_store_dword v[4:5], v100 offset:512
	flat_store_dword v[4:5], v7 offset:1024
	;; [unrolled: 1-line block ×7, first 2 shown]
	s_cbranch_scc1 .LBB2_1
; %bb.2:
	s_waitcnt lgkmcnt(0)
	s_barrier
	buffer_load_dword v20, off, s[0:3], 0 offset:80
	s_load_dwordx2 s[4:5], s[6:7], 0x10
	s_add_u32 s36, s58, s36
	s_mul_i32 s7, s40, s77
	s_mul_hi_u32 s12, s40, s76
	s_mul_i32 s13, s41, s76
	s_addc_u32 s37, s59, s37
	s_add_i32 s7, s12, s7
	s_mul_i32 s14, s40, s76
	s_add_i32 s7, s7, s13
	s_waitcnt lgkmcnt(0)
	s_add_u32 s44, s4, s14
	s_addc_u32 s45, s5, s7
	s_add_i32 s83, s83, s82
	v_add3_u32 v13, v40, v58, s82
	v_add_u32_e32 v40, s83, v40
	s_mul_i32 s6, s75, 12
	v_mul_hi_u32 v12, v40, s70
	v_add3_u32 v4, v39, v41, s6
	v_add_u32_e32 v41, s80, v40
	v_add_u32_e32 v12, v40, v12
	v_mul_hi_u32 v14, v41, s70
	v_lshrrev_b32_e32 v15, s69, v12
	v_add_u32_e32 v12, v41, v14
	v_mul_lo_u32 v14, v15, s68
	v_sub_u32_e32 v16, v15, v37
	v_lshrrev_b32_e32 v17, s69, v12
	v_sub_u32_e32 v12, v40, v14
	v_mul_lo_u32 v37, v16, s56
	v_sub_u32_e32 v14, v17, v15
	v_sub_u32_e32 v15, v12, v13
	v_mad_u64_u32 v[12:13], s[4:5], v17, s68, v[12:13]
	v_mul_lo_u32 v16, v37, s21
	v_mul_lo_u32 v42, v14, s56
	v_mul_lo_u32 v13, v15, s22
	v_sub_u32_e32 v12, v41, v12
	v_mul_lo_u32 v14, v42, s21
	v_add3_u32 v13, v13, v16, v57
	v_mul_lo_u32 v12, v12, s22
	v_mov_b32_e32 v36, 0
	v_add_u32_e32 v8, s78, v4
	v_add3_u32 v16, v12, v14, v13
	buffer_load_dword v24, off, s[0:3], 0 offset:112
	buffer_load_dword v30, off, s[0:3], 0 offset:160
	;; [unrolled: 1-line block ×5, first 2 shown]
	s_nop 0
	buffer_load_dwordx4 v[4:7], v4, s[52:55], 0 offen
	s_nop 0
	buffer_load_dwordx4 v[8:11], v8, s[52:55], 0 offen
	s_nop 0
	buffer_load_dwordx4 v[12:15], v13, s[48:51], 0 offen
	s_nop 0
	buffer_load_dwordx4 v[16:19], v16, s[48:51], 0 offen
	s_nop 0
	buffer_store_dword v36, off, s[0:3], 0
	buffer_store_dword v36, off, s[0:3], 0 offset:4
	buffer_store_dword v36, off, s[0:3], 0 offset:8
	;; [unrolled: 1-line block ×15, first 2 shown]
	s_add_i32 s6, s6, s81
	v_add_u32_e32 v37, v37, v56
	v_add_u32_e32 v39, s6, v39
	v_cmp_le_i32_e64 s[14:15], s25, v37
	v_cmp_gt_i32_e64 s[16:17], s24, v37
	v_cmp_gt_i32_e64 s[4:5], s67, v39
	v_add_u32_e32 v37, v42, v37
	s_and_b64 s[30:31], s[14:15], s[16:17]
	v_add_u32_e32 v39, s78, v39
	v_cmp_le_i32_e64 s[14:15], s25, v37
	v_cmp_gt_i32_e64 s[16:17], s24, v37
	v_cmp_gt_i32_e64 s[6:7], s79, v41
	;; [unrolled: 1-line block ×3, first 2 shown]
	s_and_b64 s[14:15], s[14:15], s[16:17]
	s_mov_b64 s[18:19], src_private_base
	s_and_b64 s[6:7], s[6:7], s[14:15]
	s_waitcnt vmcnt(0)
	v_ashrrev_i32_e32 v21, 31, v20
	v_add_co_u32_e32 v28, vcc, v1, v20
	v_addc_co_u32_e32 v29, vcc, v0, v21, vcc
	flat_load_dwordx4 v[20:23], v[28:29]
	buffer_load_dword v43, off, s[0:3], 0 offset:192
	buffer_load_dword v44, off, s[0:3], 0 offset:196
	buffer_load_dword v45, off, s[0:3], 0 offset:188
	s_waitcnt vmcnt(0) lgkmcnt(0)
	buffer_store_dword v20, off, s[0:3], 0
	buffer_store_dword v21, off, s[0:3], 0 offset:4
	buffer_store_dword v22, off, s[0:3], 0 offset:8
	;; [unrolled: 1-line block ×3, first 2 shown]
	v_ashrrev_i32_e32 v0, 31, v24
	v_add_co_u32_e32 v24, vcc, v2, v24
	v_addc_co_u32_e32 v25, vcc, v3, v0, vcc
	flat_load_dwordx4 v[0:3], v[24:25]
	v_cmp_gt_i32_e32 vcc, s79, v40
	s_and_b64 s[24:25], vcc, s[30:31]
	s_and_b64 vcc, s[10:11], s[4:5]
	v_cndmask_b32_e32 v37, 0, v7, vcc
	v_cndmask_b32_e32 v39, 0, v6, vcc
	v_cndmask_b32_e32 v40, 0, v5, vcc
	v_cndmask_b32_e32 v41, 0, v4, vcc
	s_and_b64 vcc, s[10:11], s[12:13]
	v_cndmask_b32_e32 v42, 0, v11, vcc
	v_cndmask_b32_e32 v56, 0, v10, vcc
	v_cndmask_b32_e32 v72, 0, v9, vcc
	v_cndmask_b32_e32 v73, 0, v8, vcc
	;; [unrolled: 5-line block ×3, first 2 shown]
	s_and_b64 vcc, s[8:9], s[6:7]
	v_mov_b32_e32 v8, s42
	v_mov_b32_e32 v9, s47
	;; [unrolled: 1-line block ×4, first 2 shown]
	v_cndmask_b32_e32 v78, 0, v19, vcc
	v_cndmask_b32_e32 v79, 0, v18, vcc
	;; [unrolled: 1-line block ×4, first 2 shown]
	s_waitcnt vmcnt(0) lgkmcnt(0)
	buffer_store_dword v0, off, s[0:3], 0 offset:32
	buffer_store_dword v1, off, s[0:3], 0 offset:36
	;; [unrolled: 1-line block ×4, first 2 shown]
	flat_load_dwordx4 v[24:27], v[24:25] offset:256
	s_nop 0
	buffer_load_dword v46, off, s[0:3], 0 offset:144
	buffer_load_dword v47, off, s[0:3], 0 offset:148
	;; [unrolled: 1-line block ×25, first 2 shown]
	v_dot4c_i32_i8_e32 v33, v20, v3
	v_dot4c_i32_i8_e32 v45, v21, v3
	s_waitcnt vmcnt(0) lgkmcnt(0)
	buffer_store_dword v24, off, s[0:3], 0 offset:48
	buffer_store_dword v25, off, s[0:3], 0 offset:52
	;; [unrolled: 1-line block ×4, first 2 shown]
	flat_load_dwordx4 v[4:7], v[28:29] offset:256
	v_dot4c_i32_i8_e32 v46, v20, v0
	v_dot4c_i32_i8_e32 v47, v20, v1
	;; [unrolled: 1-line block ×30, first 2 shown]
	v_mov_b32_e32 v0, s64
	v_mov_b32_e32 v1, s43
	;; [unrolled: 1-line block ×4, first 2 shown]
	buffer_store_dword v46, off, s[0:3], 0 offset:144
	buffer_store_dword v47, off, s[0:3], 0 offset:148
	;; [unrolled: 1-line block ×32, first 2 shown]
	s_waitcnt vmcnt(0) lgkmcnt(0)
	buffer_store_dword v4, off, s[0:3], 0 offset:16
	buffer_store_dword v5, off, s[0:3], 0 offset:20
	;; [unrolled: 1-line block ×4, first 2 shown]
	v_mov_b32_e32 v4, 0
	v_mov_b32_e32 v6, 32
	v_mov_b32_e32 v5, s19
	v_mov_b32_e32 v7, s19
	s_swappc_b64 s[30:31], s[26:27]
	buffer_load_dword v0, off, s[0:3], 0 offset:32
	buffer_load_dword v1, off, s[0:3], 0 offset:36
	;; [unrolled: 1-line block ×46, first 2 shown]
	s_mov_b32 s4, 0x3020104
	s_waitcnt vmcnt(39)
	v_dot4c_i32_i8_e32 v6, v4, v0
	s_waitcnt vmcnt(38)
	v_dot4c_i32_i8_e32 v7, v4, v1
	;; [unrolled: 2-line block ×15, first 2 shown]
	v_perm_b32 v2, v77, v77, s4
	s_waitcnt vmcnt(22)
	v_dot4c_i32_i8_e32 v23, v19, v3
	v_perm_b32 v3, v39, v39, s4
	s_waitcnt vmcnt(17)
	v_dot4c_i32_i8_e32 v28, v4, v24
	s_waitcnt vmcnt(16)
	v_dot4c_i32_i8_e32 v29, v4, v27
	;; [unrolled: 2-line block ×16, first 2 shown]
	buffer_store_dword v6, off, s[0:3], 0 offset:272
	buffer_store_dword v7, off, s[0:3], 0 offset:276
	;; [unrolled: 1-line block ×18, first 2 shown]
	s_waitcnt vmcnt(18)
	v_add_co_u32_e32 v0, vcc, v54, v34
	v_addc_co_u32_e32 v1, vcc, 0, v53, vcc
	buffer_store_dword v30, off, s[0:3], 0 offset:296
	buffer_store_dword v31, off, s[0:3], 0 offset:300
	;; [unrolled: 1-line block ×14, first 2 shown]
	flat_store_dword v[0:1], v2
	flat_store_dword v[0:1], v76 offset:512
	v_perm_b32 v2, v75, v75, s4
	flat_store_dword v[0:1], v2 offset:1024
	flat_store_dword v[0:1], v74 offset:1536
	v_perm_b32 v2, v81, v81, s4
	flat_store_dword v[0:1], v2 offset:2048
	;; [unrolled: 3-line block ×3, first 2 shown]
	flat_store_dword v[0:1], v78 offset:3584
	buffer_load_dword v4, off, s[0:3], 0 offset:448
	buffer_load_dword v5, off, s[0:3], 0 offset:452
	v_perm_b32 v2, v41, v41, s4
	v_perm_b32 v6, v73, v73, s4
	v_perm_b32 v7, v56, v56, s4
	s_waitcnt vmcnt(0)
	v_add_co_u32_e32 v0, vcc, v4, v34
	v_addc_co_u32_e32 v1, vcc, 0, v5, vcc
	flat_store_dword v[0:1], v2
	flat_store_dword v[0:1], v40 offset:512
	flat_store_dword v[0:1], v3 offset:1024
	;; [unrolled: 1-line block ×7, first 2 shown]
	s_waitcnt lgkmcnt(0)
	s_barrier
	buffer_load_dword v0, off, s[0:3], 0 offset:80
	s_nop 0
	buffer_store_dword v36, off, s[0:3], 0
	buffer_store_dword v36, off, s[0:3], 0 offset:4
	buffer_store_dword v36, off, s[0:3], 0 offset:8
	;; [unrolled: 1-line block ×15, first 2 shown]
	buffer_load_dword v6, off, s[0:3], 0 offset:112
	buffer_load_dword v16, off, s[0:3], 0 offset:160
	;; [unrolled: 1-line block ×5, first 2 shown]
	s_waitcnt vmcnt(0)
	v_ashrrev_i32_e32 v7, 31, v6
	v_ashrrev_i32_e32 v1, 31, v0
	v_add_co_u32_e32 v12, vcc, v54, v0
	v_addc_co_u32_e32 v13, vcc, v53, v1, vcc
	flat_load_dwordx4 v[0:3], v[12:13]
	v_add_co_u32_e32 v8, vcc, v4, v6
	buffer_load_dword v20, off, s[0:3], 0 offset:192
	buffer_load_dword v21, off, s[0:3], 0 offset:196
	;; [unrolled: 1-line block ×3, first 2 shown]
	v_addc_co_u32_e32 v9, vcc, v5, v7, vcc
	s_waitcnt vmcnt(0) lgkmcnt(0)
	buffer_store_dword v0, off, s[0:3], 0
	buffer_store_dword v1, off, s[0:3], 0 offset:4
	buffer_store_dword v2, off, s[0:3], 0 offset:8
	;; [unrolled: 1-line block ×3, first 2 shown]
	flat_load_dwordx4 v[4:7], v[8:9]
	s_waitcnt vmcnt(0) lgkmcnt(0)
	buffer_store_dword v4, off, s[0:3], 0 offset:32
	buffer_store_dword v5, off, s[0:3], 0 offset:36
	;; [unrolled: 1-line block ×4, first 2 shown]
	flat_load_dwordx4 v[8:11], v[8:9] offset:256
	s_nop 0
	buffer_load_dword v23, off, s[0:3], 0 offset:144
	buffer_load_dword v24, off, s[0:3], 0 offset:148
	;; [unrolled: 1-line block ×25, first 2 shown]
	v_dot4c_i32_i8_e32 v19, v0, v7
	v_dot4c_i32_i8_e32 v22, v1, v7
	s_waitcnt vmcnt(0) lgkmcnt(0)
	buffer_store_dword v8, off, s[0:3], 0 offset:48
	buffer_store_dword v9, off, s[0:3], 0 offset:52
	buffer_store_dword v10, off, s[0:3], 0 offset:56
	buffer_store_dword v11, off, s[0:3], 0 offset:60
	flat_load_dwordx4 v[12:15], v[12:13] offset:256
	v_dot4c_i32_i8_e32 v23, v0, v4
	v_dot4c_i32_i8_e32 v24, v0, v5
	;; [unrolled: 1-line block ×30, first 2 shown]
	v_mov_b32_e32 v0, s64
	v_mov_b32_e32 v1, s43
	;; [unrolled: 1-line block ×12, first 2 shown]
	buffer_store_dword v23, off, s[0:3], 0 offset:144
	buffer_store_dword v24, off, s[0:3], 0 offset:148
	buffer_store_dword v25, off, s[0:3], 0 offset:152
	buffer_store_dword v19, off, s[0:3], 0 offset:156
	buffer_store_dword v26, off, s[0:3], 0 offset:176
	buffer_store_dword v27, off, s[0:3], 0 offset:180
	buffer_store_dword v28, off, s[0:3], 0 offset:184
	buffer_store_dword v22, off, s[0:3], 0 offset:188
	buffer_store_dword v29, off, s[0:3], 0 offset:208
	buffer_store_dword v30, off, s[0:3], 0 offset:212
	buffer_store_dword v31, off, s[0:3], 0 offset:216
	buffer_store_dword v32, off, s[0:3], 0 offset:220
	buffer_store_dword v33, off, s[0:3], 0 offset:240
	buffer_store_dword v34, off, s[0:3], 0 offset:244
	buffer_store_dword v37, off, s[0:3], 0 offset:248
	buffer_store_dword v39, off, s[0:3], 0 offset:252
	buffer_store_dword v16, off, s[0:3], 0 offset:160
	buffer_store_dword v17, off, s[0:3], 0 offset:164
	buffer_store_dword v18, off, s[0:3], 0 offset:168
	buffer_store_dword v40, off, s[0:3], 0 offset:172
	buffer_store_dword v20, off, s[0:3], 0 offset:192
	buffer_store_dword v21, off, s[0:3], 0 offset:196
	buffer_store_dword v41, off, s[0:3], 0 offset:200
	buffer_store_dword v44, off, s[0:3], 0 offset:204
	buffer_store_dword v42, off, s[0:3], 0 offset:224
	buffer_store_dword v43, off, s[0:3], 0 offset:228
	buffer_store_dword v45, off, s[0:3], 0 offset:232
	buffer_store_dword v48, off, s[0:3], 0 offset:236
	buffer_store_dword v46, off, s[0:3], 0 offset:256
	buffer_store_dword v47, off, s[0:3], 0 offset:260
	buffer_store_dword v49, off, s[0:3], 0 offset:264
	buffer_store_dword v50, off, s[0:3], 0 offset:268
	s_waitcnt vmcnt(0) lgkmcnt(0)
	buffer_store_dword v12, off, s[0:3], 0 offset:16
	buffer_store_dword v13, off, s[0:3], 0 offset:20
	;; [unrolled: 1-line block ×4, first 2 shown]
	s_swappc_b64 s[30:31], s[26:27]
	buffer_load_dword v0, off, s[0:3], 0 offset:32
	buffer_load_dword v1, off, s[0:3], 0 offset:36
	;; [unrolled: 1-line block ×46, first 2 shown]
	s_mov_b32 s47, 0x20000
	s_lshl_b32 s10, s35, 6
	s_mov_b32 s39, s47
	s_lshl_b32 s11, s29, 6
	s_waitcnt vmcnt(40)
	v_dot4c_i32_i8_e32 v5, v4, v0
	s_waitcnt vmcnt(39)
	v_dot4c_i32_i8_e32 v6, v4, v1
	;; [unrolled: 2-line block ×5, first 2 shown]
	v_dot4c_i32_i8_e32 v9, v13, v0
	v_dot4c_i32_i8_e32 v10, v13, v1
	v_dot4c_i32_i8_e32 v11, v13, v2
	s_waitcnt vmcnt(30)
	v_dot4c_i32_i8_e32 v15, v14, v0
	s_waitcnt vmcnt(27)
	v_dot4c_i32_i8_e32 v18, v14, v3
	v_dot4c_i32_i8_e32 v16, v14, v1
	;; [unrolled: 1-line block ×3, first 2 shown]
	s_waitcnt vmcnt(25)
	v_dot4c_i32_i8_e32 v20, v19, v0
	s_waitcnt vmcnt(24)
	v_dot4c_i32_i8_e32 v21, v19, v1
	;; [unrolled: 2-line block ×3, first 2 shown]
	v_lshl_add_u32 v3, s61, 7, v38
	v_dot4c_i32_i8_e32 v22, v19, v2
	s_waitcnt vmcnt(19)
	v_dot4c_i32_i8_e32 v26, v4, v24
	s_waitcnt vmcnt(18)
	v_dot4c_i32_i8_e32 v27, v4, v25
	buffer_store_dword v5, off, s[0:3], 0 offset:272
	buffer_store_dword v6, off, s[0:3], 0 offset:276
	;; [unrolled: 1-line block ×18, first 2 shown]
	s_waitcnt vmcnt(34)
	v_dot4c_i32_i8_e32 v29, v4, v28
	v_lshl_add_u32 v2, s57, 7, v35
	s_waitcnt vmcnt(32)
	v_dot4c_i32_i8_e32 v31, v4, v30
	s_waitcnt vmcnt(31)
	v_dot4c_i32_i8_e32 v32, v13, v24
	buffer_store_dword v29, off, s[0:3], 0 offset:296
	s_waitcnt vmcnt(31)
	v_dot4c_i32_i8_e32 v33, v13, v25
	s_waitcnt vmcnt(30)
	v_dot4c_i32_i8_e32 v34, v13, v28
	;; [unrolled: 2-line block ×11, first 2 shown]
	v_mul_lo_u32 v0, v3, s34
	buffer_load_dword v5, off, s[0:3], 0 offset:172
	buffer_load_dword v6, off, s[0:3], 0 offset:168
	v_mad_u64_u32 v[0:1], s[4:5], v2, s35, v[0:1]
	buffer_store_dword v31, off, s[0:3], 0 offset:300
	buffer_store_dword v32, off, s[0:3], 0 offset:320
	;; [unrolled: 1-line block ×13, first 2 shown]
	buffer_load_dword v1, v0, s[44:47], 0 offen
	buffer_load_dword v4, off, s[0:3], 0 offset:152
	buffer_load_dword v7, off, s[0:3], 0 offset:148
	v_cmp_gt_i32_e32 vcc, s60, v2
	v_cmp_gt_i32_e64 s[4:5], s23, v3
	s_and_b64 s[6:7], s[4:5], vcc
	v_add_u32_e32 v8, s10, v0
	v_add_u32_e32 v0, s34, v0
	v_or_b32_e32 v15, 1, v3
	v_add_u32_e32 v16, s10, v0
	s_waitcnt vmcnt(2)
	v_cndmask_b32_e64 v1, 0, v1, s[6:7]
	v_add_u16_e32 v9, v1, v47
	v_add_u16_sdwa v10, v1, v48 dst_sel:DWORD dst_unused:UNUSED_PAD src0_sel:BYTE_3 src1_sel:DWORD
	s_waitcnt vmcnt(1)
	v_add_u16_sdwa v4, v1, v4 dst_sel:DWORD dst_unused:UNUSED_PAD src0_sel:WORD_1 src1_sel:DWORD
	s_waitcnt vmcnt(0)
	v_add_u16_sdwa v1, v1, v7 dst_sel:DWORD dst_unused:UNUSED_PAD src0_sel:BYTE_1 src1_sel:DWORD
	v_max_i16_sdwa v9, sext(v9), v36 dst_sel:DWORD dst_unused:UNUSED_PAD src0_sel:BYTE_0 src1_sel:DWORD
	v_max_i16_sdwa v1, sext(v1), v36 dst_sel:DWORD dst_unused:UNUSED_PAD src0_sel:BYTE_0 src1_sel:DWORD
	;; [unrolled: 1-line block ×4, first 2 shown]
	buffer_store_dword v9, off, s[0:3], 0 offset:144
	buffer_store_dword v10, off, s[0:3], 0 offset:156
	;; [unrolled: 1-line block ×4, first 2 shown]
	buffer_load_dword v9, off, s[0:3], 0 offset:144
	s_nop 0
	buffer_load_dword v1, v8, s[44:47], 0 offen
	buffer_load_dword v4, off, s[0:3], 0 offset:160
	buffer_load_dword v7, off, s[0:3], 0 offset:164
	v_add_u32_e32 v8, 64, v2
	v_cmp_gt_i32_e64 s[6:7], s60, v8
	s_and_b64 s[4:5], s[4:5], s[6:7]
	buffer_load_dword v10, off, s[0:3], 0 offset:156
	s_waitcnt vmcnt(3)
	v_cndmask_b32_e64 v1, 0, v1, s[4:5]
	s_waitcnt vmcnt(2)
	v_add_u16_e32 v4, v1, v4
	v_add_u16_sdwa v5, v1, v5 dst_sel:DWORD dst_unused:UNUSED_PAD src0_sel:BYTE_3 src1_sel:DWORD
	v_add_u16_sdwa v6, v1, v6 dst_sel:DWORD dst_unused:UNUSED_PAD src0_sel:WORD_1 src1_sel:DWORD
	s_waitcnt vmcnt(1)
	v_add_u16_sdwa v1, v1, v7 dst_sel:DWORD dst_unused:UNUSED_PAD src0_sel:BYTE_1 src1_sel:DWORD
	v_max_i16_sdwa v4, sext(v4), v36 dst_sel:DWORD dst_unused:UNUSED_PAD src0_sel:BYTE_0 src1_sel:DWORD
	v_max_i16_sdwa v1, sext(v1), v36 dst_sel:DWORD dst_unused:UNUSED_PAD src0_sel:BYTE_0 src1_sel:DWORD
	;; [unrolled: 1-line block ×4, first 2 shown]
	buffer_store_dword v4, off, s[0:3], 0 offset:160
	buffer_store_dword v5, off, s[0:3], 0 offset:172
	;; [unrolled: 1-line block ×4, first 2 shown]
	buffer_load_dword v1, v0, s[44:47], 0 offen
	s_nop 0
	buffer_load_dword v4, off, s[0:3], 0 offset:176
	buffer_load_dword v5, off, s[0:3], 0 offset:188
	;; [unrolled: 1-line block ×8, first 2 shown]
	v_cmp_gt_i32_e64 s[4:5], s23, v15
	s_and_b64 s[8:9], s[4:5], vcc
	s_and_b64 s[4:5], s[4:5], s[6:7]
	v_add_u32_e32 v0, s34, v0
	v_add_u32_e32 v17, s10, v0
	s_waitcnt vmcnt(8)
	v_cndmask_b32_e64 v1, 0, v1, s[8:9]
	s_waitcnt vmcnt(7)
	v_add_u16_e32 v4, v1, v4
	s_waitcnt vmcnt(6)
	v_add_u16_sdwa v5, v1, v5 dst_sel:DWORD dst_unused:UNUSED_PAD src0_sel:BYTE_3 src1_sel:DWORD
	s_waitcnt vmcnt(5)
	v_add_u16_sdwa v6, v1, v6 dst_sel:DWORD dst_unused:UNUSED_PAD src0_sel:WORD_1 src1_sel:DWORD
	s_waitcnt vmcnt(4)
	v_add_u16_sdwa v1, v1, v7 dst_sel:DWORD dst_unused:UNUSED_PAD src0_sel:BYTE_1 src1_sel:DWORD
	v_max_i16_sdwa v4, sext(v4), v36 dst_sel:DWORD dst_unused:UNUSED_PAD src0_sel:BYTE_0 src1_sel:DWORD
	v_max_i16_sdwa v1, sext(v1), v36 dst_sel:DWORD dst_unused:UNUSED_PAD src0_sel:BYTE_0 src1_sel:DWORD
	;; [unrolled: 1-line block ×4, first 2 shown]
	buffer_store_dword v4, off, s[0:3], 0 offset:176
	buffer_store_dword v5, off, s[0:3], 0 offset:188
	;; [unrolled: 1-line block ×4, first 2 shown]
	buffer_load_dword v1, v16, s[44:47], 0 offen
	v_or_b32_e32 v16, 2, v3
	s_waitcnt vmcnt(0)
	v_cndmask_b32_e64 v1, 0, v1, s[4:5]
	v_add_u16_e32 v4, v1, v11
	v_add_u16_sdwa v5, v1, v14 dst_sel:DWORD dst_unused:UNUSED_PAD src0_sel:BYTE_3 src1_sel:DWORD
	v_add_u16_sdwa v6, v1, v13 dst_sel:DWORD dst_unused:UNUSED_PAD src0_sel:WORD_1 src1_sel:DWORD
	v_add_u16_sdwa v1, v1, v12 dst_sel:DWORD dst_unused:UNUSED_PAD src0_sel:BYTE_1 src1_sel:DWORD
	v_max_i16_sdwa v4, sext(v4), v36 dst_sel:DWORD dst_unused:UNUSED_PAD src0_sel:BYTE_0 src1_sel:DWORD
	v_max_i16_sdwa v1, sext(v1), v36 dst_sel:DWORD dst_unused:UNUSED_PAD src0_sel:BYTE_0 src1_sel:DWORD
	;; [unrolled: 1-line block ×4, first 2 shown]
	buffer_store_dword v4, off, s[0:3], 0 offset:192
	buffer_store_dword v5, off, s[0:3], 0 offset:204
	;; [unrolled: 1-line block ×4, first 2 shown]
	buffer_load_dword v1, v0, s[44:47], 0 offen
	s_nop 0
	buffer_load_dword v4, off, s[0:3], 0 offset:208
	buffer_load_dword v5, off, s[0:3], 0 offset:220
	;; [unrolled: 1-line block ×8, first 2 shown]
	v_cmp_gt_i32_e64 s[4:5], s23, v16
	s_and_b64 s[8:9], s[4:5], vcc
	s_and_b64 s[4:5], s[4:5], s[6:7]
	v_add_u32_e32 v0, s34, v0
	v_add_u32_e32 v18, s10, v0
	s_waitcnt vmcnt(8)
	v_cndmask_b32_e64 v1, 0, v1, s[8:9]
	s_waitcnt vmcnt(7)
	v_add_u16_e32 v4, v1, v4
	s_waitcnt vmcnt(6)
	v_add_u16_sdwa v5, v1, v5 dst_sel:DWORD dst_unused:UNUSED_PAD src0_sel:BYTE_3 src1_sel:DWORD
	s_waitcnt vmcnt(5)
	v_add_u16_sdwa v6, v1, v6 dst_sel:DWORD dst_unused:UNUSED_PAD src0_sel:WORD_1 src1_sel:DWORD
	s_waitcnt vmcnt(4)
	v_add_u16_sdwa v1, v1, v7 dst_sel:DWORD dst_unused:UNUSED_PAD src0_sel:BYTE_1 src1_sel:DWORD
	v_max_i16_sdwa v4, sext(v4), v36 dst_sel:DWORD dst_unused:UNUSED_PAD src0_sel:BYTE_0 src1_sel:DWORD
	v_max_i16_sdwa v1, sext(v1), v36 dst_sel:DWORD dst_unused:UNUSED_PAD src0_sel:BYTE_0 src1_sel:DWORD
	v_max_i16_sdwa v6, sext(v6), v36 dst_sel:DWORD dst_unused:UNUSED_PAD src0_sel:BYTE_0 src1_sel:DWORD
	v_max_i16_sdwa v5, sext(v5), v36 dst_sel:DWORD dst_unused:UNUSED_PAD src0_sel:BYTE_0 src1_sel:DWORD
	buffer_store_dword v4, off, s[0:3], 0 offset:208
	buffer_store_dword v5, off, s[0:3], 0 offset:220
	;; [unrolled: 1-line block ×4, first 2 shown]
	buffer_load_dword v1, v17, s[44:47], 0 offen
	v_or_b32_e32 v17, 3, v3
	s_waitcnt vmcnt(0)
	v_cndmask_b32_e64 v1, 0, v1, s[4:5]
	v_add_u16_e32 v4, v1, v11
	v_add_u16_sdwa v5, v1, v14 dst_sel:DWORD dst_unused:UNUSED_PAD src0_sel:BYTE_3 src1_sel:DWORD
	v_add_u16_sdwa v6, v1, v13 dst_sel:DWORD dst_unused:UNUSED_PAD src0_sel:WORD_1 src1_sel:DWORD
	v_add_u16_sdwa v1, v1, v12 dst_sel:DWORD dst_unused:UNUSED_PAD src0_sel:BYTE_1 src1_sel:DWORD
	v_max_i16_sdwa v4, sext(v4), v36 dst_sel:DWORD dst_unused:UNUSED_PAD src0_sel:BYTE_0 src1_sel:DWORD
	v_max_i16_sdwa v1, sext(v1), v36 dst_sel:DWORD dst_unused:UNUSED_PAD src0_sel:BYTE_0 src1_sel:DWORD
	;; [unrolled: 1-line block ×4, first 2 shown]
	buffer_store_dword v4, off, s[0:3], 0 offset:224
	buffer_store_dword v5, off, s[0:3], 0 offset:236
	;; [unrolled: 1-line block ×4, first 2 shown]
	buffer_load_dword v1, v0, s[44:47], 0 offen
	s_nop 0
	buffer_load_dword v4, off, s[0:3], 0 offset:240
	buffer_load_dword v5, off, s[0:3], 0 offset:252
	;; [unrolled: 1-line block ×8, first 2 shown]
	v_cmp_gt_i32_e64 s[4:5], s23, v17
	s_and_b64 s[8:9], s[4:5], vcc
	s_and_b64 s[4:5], s[4:5], s[6:7]
	s_waitcnt vmcnt(8)
	v_cndmask_b32_e64 v1, 0, v1, s[8:9]
	s_waitcnt vmcnt(7)
	v_add_u16_e32 v4, v1, v4
	s_waitcnt vmcnt(6)
	v_add_u16_sdwa v5, v1, v5 dst_sel:DWORD dst_unused:UNUSED_PAD src0_sel:BYTE_3 src1_sel:DWORD
	s_waitcnt vmcnt(5)
	v_add_u16_sdwa v6, v1, v6 dst_sel:DWORD dst_unused:UNUSED_PAD src0_sel:WORD_1 src1_sel:DWORD
	s_waitcnt vmcnt(4)
	v_add_u16_sdwa v1, v1, v7 dst_sel:DWORD dst_unused:UNUSED_PAD src0_sel:BYTE_1 src1_sel:DWORD
	v_max_i16_sdwa v4, sext(v4), v36 dst_sel:DWORD dst_unused:UNUSED_PAD src0_sel:BYTE_0 src1_sel:DWORD
	v_max_i16_sdwa v1, sext(v1), v36 dst_sel:DWORD dst_unused:UNUSED_PAD src0_sel:BYTE_0 src1_sel:DWORD
	;; [unrolled: 1-line block ×4, first 2 shown]
	buffer_store_dword v4, off, s[0:3], 0 offset:240
	buffer_store_dword v5, off, s[0:3], 0 offset:252
	;; [unrolled: 1-line block ×4, first 2 shown]
	buffer_load_dword v1, v18, s[44:47], 0 offen
	s_waitcnt vmcnt(0)
	v_mad_u64_u32 v[4:5], s[8:9], s34, 61, v[0:1]
	v_cndmask_b32_e64 v0, 0, v1, s[4:5]
	v_add_u16_e32 v1, v0, v11
	v_add_u16_sdwa v5, v0, v14 dst_sel:DWORD dst_unused:UNUSED_PAD src0_sel:BYTE_3 src1_sel:DWORD
	v_add_u16_sdwa v6, v0, v13 dst_sel:DWORD dst_unused:UNUSED_PAD src0_sel:WORD_1 src1_sel:DWORD
	v_add_u16_sdwa v0, v0, v12 dst_sel:DWORD dst_unused:UNUSED_PAD src0_sel:BYTE_1 src1_sel:DWORD
	v_max_i16_sdwa v1, sext(v1), v36 dst_sel:DWORD dst_unused:UNUSED_PAD src0_sel:BYTE_0 src1_sel:DWORD
	v_max_i16_sdwa v0, sext(v0), v36 dst_sel:DWORD dst_unused:UNUSED_PAD src0_sel:BYTE_0 src1_sel:DWORD
	;; [unrolled: 1-line block ×4, first 2 shown]
	buffer_store_dword v1, off, s[0:3], 0 offset:256
	buffer_store_dword v5, off, s[0:3], 0 offset:268
	buffer_store_dword v6, off, s[0:3], 0 offset:264
	buffer_store_dword v0, off, s[0:3], 0 offset:260
	buffer_load_dword v1, v4, s[44:47], 0 offen
	s_nop 0
	buffer_load_dword v5, off, s[0:3], 0 offset:272
	buffer_load_dword v6, off, s[0:3], 0 offset:284
	;; [unrolled: 1-line block ×4, first 2 shown]
	v_add_u32_e32 v0, 64, v3
	v_cmp_gt_i32_e64 s[4:5], s23, v0
	s_and_b64 s[8:9], s[4:5], vcc
	v_add_u32_e32 v12, s10, v4
	buffer_load_dword v13, off, s[0:3], 0 offset:288
	buffer_load_dword v14, off, s[0:3], 0 offset:292
	;; [unrolled: 1-line block ×4, first 2 shown]
	s_and_b64 s[4:5], s[4:5], s[6:7]
	v_add_u32_e32 v4, s34, v4
	s_waitcnt vmcnt(8)
	v_cndmask_b32_e64 v1, 0, v1, s[8:9]
	s_waitcnt vmcnt(7)
	v_add_u16_e32 v5, v1, v5
	s_waitcnt vmcnt(6)
	v_add_u16_sdwa v6, v1, v6 dst_sel:DWORD dst_unused:UNUSED_PAD src0_sel:BYTE_3 src1_sel:DWORD
	s_waitcnt vmcnt(5)
	v_add_u16_sdwa v7, v1, v7 dst_sel:DWORD dst_unused:UNUSED_PAD src0_sel:WORD_1 src1_sel:DWORD
	s_waitcnt vmcnt(4)
	v_add_u16_sdwa v1, v1, v11 dst_sel:DWORD dst_unused:UNUSED_PAD src0_sel:BYTE_1 src1_sel:DWORD
	v_max_i16_sdwa v5, sext(v5), v36 dst_sel:DWORD dst_unused:UNUSED_PAD src0_sel:BYTE_0 src1_sel:DWORD
	v_max_i16_sdwa v1, sext(v1), v36 dst_sel:DWORD dst_unused:UNUSED_PAD src0_sel:BYTE_0 src1_sel:DWORD
	;; [unrolled: 1-line block ×4, first 2 shown]
	buffer_store_dword v5, off, s[0:3], 0 offset:272
	buffer_store_dword v6, off, s[0:3], 0 offset:284
	;; [unrolled: 1-line block ×4, first 2 shown]
	buffer_load_dword v1, v12, s[44:47], 0 offen
	v_add_u32_e32 v12, 0x41, v3
	s_waitcnt vmcnt(0)
	v_cndmask_b32_e64 v1, 0, v1, s[4:5]
	v_add_u16_e32 v5, v1, v13
	v_add_u16_sdwa v6, v1, v19 dst_sel:DWORD dst_unused:UNUSED_PAD src0_sel:BYTE_3 src1_sel:DWORD
	v_add_u16_sdwa v7, v1, v18 dst_sel:DWORD dst_unused:UNUSED_PAD src0_sel:WORD_1 src1_sel:DWORD
	v_add_u16_sdwa v1, v1, v14 dst_sel:DWORD dst_unused:UNUSED_PAD src0_sel:BYTE_1 src1_sel:DWORD
	v_max_i16_sdwa v5, sext(v5), v36 dst_sel:DWORD dst_unused:UNUSED_PAD src0_sel:BYTE_0 src1_sel:DWORD
	v_max_i16_sdwa v1, sext(v1), v36 dst_sel:DWORD dst_unused:UNUSED_PAD src0_sel:BYTE_0 src1_sel:DWORD
	;; [unrolled: 1-line block ×4, first 2 shown]
	buffer_store_dword v5, off, s[0:3], 0 offset:288
	buffer_store_dword v6, off, s[0:3], 0 offset:300
	;; [unrolled: 1-line block ×4, first 2 shown]
	buffer_load_dword v1, v4, s[44:47], 0 offen
	s_nop 0
	buffer_load_dword v5, off, s[0:3], 0 offset:304
	buffer_load_dword v6, off, s[0:3], 0 offset:316
	;; [unrolled: 1-line block ×4, first 2 shown]
	v_cmp_gt_i32_e64 s[4:5], s23, v12
	s_and_b64 s[8:9], s[4:5], vcc
	v_add_u32_e32 v13, s10, v4
	buffer_load_dword v14, off, s[0:3], 0 offset:320
	buffer_load_dword v18, off, s[0:3], 0 offset:324
	;; [unrolled: 1-line block ×4, first 2 shown]
	s_and_b64 s[4:5], s[4:5], s[6:7]
	v_add_u32_e32 v4, s34, v4
	s_waitcnt vmcnt(8)
	v_cndmask_b32_e64 v1, 0, v1, s[8:9]
	s_waitcnt vmcnt(7)
	v_add_u16_e32 v5, v1, v5
	s_waitcnt vmcnt(6)
	v_add_u16_sdwa v6, v1, v6 dst_sel:DWORD dst_unused:UNUSED_PAD src0_sel:BYTE_3 src1_sel:DWORD
	s_waitcnt vmcnt(5)
	v_add_u16_sdwa v7, v1, v7 dst_sel:DWORD dst_unused:UNUSED_PAD src0_sel:WORD_1 src1_sel:DWORD
	s_waitcnt vmcnt(4)
	v_add_u16_sdwa v1, v1, v11 dst_sel:DWORD dst_unused:UNUSED_PAD src0_sel:BYTE_1 src1_sel:DWORD
	v_max_i16_sdwa v5, sext(v5), v36 dst_sel:DWORD dst_unused:UNUSED_PAD src0_sel:BYTE_0 src1_sel:DWORD
	v_max_i16_sdwa v1, sext(v1), v36 dst_sel:DWORD dst_unused:UNUSED_PAD src0_sel:BYTE_0 src1_sel:DWORD
	;; [unrolled: 1-line block ×4, first 2 shown]
	buffer_store_dword v5, off, s[0:3], 0 offset:304
	buffer_store_dword v6, off, s[0:3], 0 offset:316
	;; [unrolled: 1-line block ×4, first 2 shown]
	buffer_load_dword v1, v13, s[44:47], 0 offen
	v_add_u32_e32 v13, 0x42, v3
	s_waitcnt vmcnt(0)
	v_cndmask_b32_e64 v1, 0, v1, s[4:5]
	v_add_u16_e32 v5, v1, v14
	v_add_u16_sdwa v6, v1, v20 dst_sel:DWORD dst_unused:UNUSED_PAD src0_sel:BYTE_3 src1_sel:DWORD
	v_add_u16_sdwa v7, v1, v19 dst_sel:DWORD dst_unused:UNUSED_PAD src0_sel:WORD_1 src1_sel:DWORD
	v_add_u16_sdwa v1, v1, v18 dst_sel:DWORD dst_unused:UNUSED_PAD src0_sel:BYTE_1 src1_sel:DWORD
	v_max_i16_sdwa v5, sext(v5), v36 dst_sel:DWORD dst_unused:UNUSED_PAD src0_sel:BYTE_0 src1_sel:DWORD
	v_max_i16_sdwa v1, sext(v1), v36 dst_sel:DWORD dst_unused:UNUSED_PAD src0_sel:BYTE_0 src1_sel:DWORD
	;; [unrolled: 1-line block ×4, first 2 shown]
	buffer_store_dword v5, off, s[0:3], 0 offset:320
	buffer_store_dword v6, off, s[0:3], 0 offset:332
	;; [unrolled: 1-line block ×4, first 2 shown]
	buffer_load_dword v1, v4, s[44:47], 0 offen
	s_nop 0
	buffer_load_dword v5, off, s[0:3], 0 offset:336
	buffer_load_dword v6, off, s[0:3], 0 offset:348
	;; [unrolled: 1-line block ×4, first 2 shown]
	v_cmp_gt_i32_e64 s[4:5], s23, v13
	s_and_b64 s[8:9], s[4:5], vcc
	v_add_u32_e32 v14, s10, v4
	buffer_load_dword v18, off, s[0:3], 0 offset:352
	buffer_load_dword v19, off, s[0:3], 0 offset:356
	;; [unrolled: 1-line block ×4, first 2 shown]
	s_and_b64 s[4:5], s[4:5], s[6:7]
	v_add_u32_e32 v4, s34, v4
	s_waitcnt vmcnt(8)
	v_cndmask_b32_e64 v1, 0, v1, s[8:9]
	s_waitcnt vmcnt(7)
	v_add_u16_e32 v5, v1, v5
	s_waitcnt vmcnt(6)
	v_add_u16_sdwa v6, v1, v6 dst_sel:DWORD dst_unused:UNUSED_PAD src0_sel:BYTE_3 src1_sel:DWORD
	s_waitcnt vmcnt(5)
	v_add_u16_sdwa v7, v1, v7 dst_sel:DWORD dst_unused:UNUSED_PAD src0_sel:WORD_1 src1_sel:DWORD
	s_waitcnt vmcnt(4)
	v_add_u16_sdwa v1, v1, v11 dst_sel:DWORD dst_unused:UNUSED_PAD src0_sel:BYTE_1 src1_sel:DWORD
	v_max_i16_sdwa v5, sext(v5), v36 dst_sel:DWORD dst_unused:UNUSED_PAD src0_sel:BYTE_0 src1_sel:DWORD
	v_max_i16_sdwa v1, sext(v1), v36 dst_sel:DWORD dst_unused:UNUSED_PAD src0_sel:BYTE_0 src1_sel:DWORD
	;; [unrolled: 1-line block ×4, first 2 shown]
	buffer_store_dword v5, off, s[0:3], 0 offset:336
	buffer_store_dword v6, off, s[0:3], 0 offset:348
	;; [unrolled: 1-line block ×4, first 2 shown]
	buffer_load_dword v1, v14, s[44:47], 0 offen
	v_cmp_gt_i32_e64 s[8:9], s20, v3
	s_waitcnt vmcnt(0)
	v_cndmask_b32_e64 v1, 0, v1, s[4:5]
	v_add_u16_e32 v5, v1, v18
	v_add_u16_sdwa v6, v1, v21 dst_sel:DWORD dst_unused:UNUSED_PAD src0_sel:BYTE_3 src1_sel:DWORD
	v_add_u16_sdwa v7, v1, v20 dst_sel:DWORD dst_unused:UNUSED_PAD src0_sel:WORD_1 src1_sel:DWORD
	v_add_u16_sdwa v1, v1, v19 dst_sel:DWORD dst_unused:UNUSED_PAD src0_sel:BYTE_1 src1_sel:DWORD
	v_max_i16_sdwa v5, sext(v5), v36 dst_sel:DWORD dst_unused:UNUSED_PAD src0_sel:BYTE_0 src1_sel:DWORD
	v_max_i16_sdwa v1, sext(v1), v36 dst_sel:DWORD dst_unused:UNUSED_PAD src0_sel:BYTE_0 src1_sel:DWORD
	;; [unrolled: 1-line block ×4, first 2 shown]
	buffer_store_dword v5, off, s[0:3], 0 offset:352
	buffer_store_dword v6, off, s[0:3], 0 offset:364
	;; [unrolled: 1-line block ×4, first 2 shown]
	buffer_load_dword v1, v4, s[44:47], 0 offen
	s_nop 0
	buffer_load_dword v5, off, s[0:3], 0 offset:368
	buffer_load_dword v6, off, s[0:3], 0 offset:380
	;; [unrolled: 1-line block ×6, first 2 shown]
	v_add_u32_e32 v19, 0x43, v3
	v_cmp_gt_i32_e64 s[4:5], s23, v19
	s_and_b64 vcc, s[4:5], vcc
	v_add_u32_e32 v4, s10, v4
	buffer_load_dword v20, off, s[0:3], 0 offset:384
	buffer_load_dword v21, off, s[0:3], 0 offset:388
	;; [unrolled: 1-line block ×4, first 2 shown]
	s_mov_b32 s10, 0xc0c0500
	s_and_b64 s[4:5], s[4:5], s[6:7]
	s_waitcnt vmcnt(10)
	v_cndmask_b32_e32 v1, 0, v1, vcc
	s_waitcnt vmcnt(9)
	v_add_u16_e32 v5, v1, v5
	s_waitcnt vmcnt(8)
	v_add_u16_sdwa v6, v1, v6 dst_sel:DWORD dst_unused:UNUSED_PAD src0_sel:BYTE_3 src1_sel:DWORD
	s_waitcnt vmcnt(7)
	v_add_u16_sdwa v7, v1, v7 dst_sel:DWORD dst_unused:UNUSED_PAD src0_sel:WORD_1 src1_sel:DWORD
	s_waitcnt vmcnt(6)
	v_add_u16_sdwa v1, v1, v11 dst_sel:DWORD dst_unused:UNUSED_PAD src0_sel:BYTE_1 src1_sel:DWORD
	v_max_i16_sdwa v5, sext(v5), v36 dst_sel:DWORD dst_unused:UNUSED_PAD src0_sel:BYTE_0 src1_sel:DWORD
	v_max_i16_sdwa v1, sext(v1), v36 dst_sel:DWORD dst_unused:UNUSED_PAD src0_sel:BYTE_0 src1_sel:DWORD
	;; [unrolled: 1-line block ×4, first 2 shown]
	buffer_store_dword v5, off, s[0:3], 0 offset:368
	buffer_store_dword v6, off, s[0:3], 0 offset:380
	;; [unrolled: 1-line block ×4, first 2 shown]
	buffer_load_dword v1, v4, s[44:47], 0 offen
	v_bfrev_b32_e32 v5, 1
	v_mul_lo_u32 v4, v3, s28
	v_cmp_gt_i32_e32 vcc, s33, v2
	v_mad_u64_u32 v[2:3], s[12:13], v2, s29, v[4:5]
	s_waitcnt vmcnt(10)
	v_lshlrev_b32_e32 v4, 8, v14
	s_waitcnt vmcnt(9)
	v_lshlrev_b32_e32 v6, 16, v18
	v_lshlrev_b32_e32 v7, 24, v10
	v_and_b32_e32 v6, 0xff0000, v6
	v_perm_b32 v4, v4, v9, s10
	s_and_b64 s[12:13], s[8:9], vcc
	v_or3_b32 v4, v4, v6, v7
	v_cndmask_b32_e64 v3, v5, 0, s[12:13]
	v_add_u32_e32 v3, v3, v2
	s_lshl_b32 s12, s28, 6
	s_waitcnt vmcnt(0)
	v_cndmask_b32_e64 v1, 0, v1, s[4:5]
	v_add_u16_e32 v6, v1, v20
	v_add_u16_sdwa v7, v1, v23 dst_sel:DWORD dst_unused:UNUSED_PAD src0_sel:BYTE_3 src1_sel:DWORD
	v_add_u16_sdwa v9, v1, v22 dst_sel:DWORD dst_unused:UNUSED_PAD src0_sel:WORD_1 src1_sel:DWORD
	v_add_u16_sdwa v1, v1, v21 dst_sel:DWORD dst_unused:UNUSED_PAD src0_sel:BYTE_1 src1_sel:DWORD
	v_max_i16_sdwa v6, sext(v6), v36 dst_sel:DWORD dst_unused:UNUSED_PAD src0_sel:BYTE_0 src1_sel:DWORD
	v_max_i16_sdwa v1, sext(v1), v36 dst_sel:DWORD dst_unused:UNUSED_PAD src0_sel:BYTE_0 src1_sel:DWORD
	;; [unrolled: 1-line block ×4, first 2 shown]
	buffer_store_dword v6, off, s[0:3], 0 offset:384
	buffer_store_dword v7, off, s[0:3], 0 offset:396
	;; [unrolled: 1-line block ×4, first 2 shown]
	buffer_store_dword v4, v3, s[36:39], 0 offen
	buffer_load_dword v1, off, s[0:3], 0 offset:164
	s_nop 0
	buffer_load_dword v3, off, s[0:3], 0 offset:168
	buffer_load_dword v4, off, s[0:3], 0 offset:172
	buffer_load_dword v6, off, s[0:3], 0 offset:160
	v_cmp_gt_i32_e64 s[4:5], s33, v8
	s_and_b64 s[6:7], s[8:9], s[4:5]
	v_add_u32_e32 v7, s11, v2
	v_cndmask_b32_e64 v8, v5, 0, s[6:7]
	v_add_u32_e32 v8, v8, v7
	v_cmp_gt_i32_e64 s[6:7], s20, v15
	s_and_b64 s[8:9], s[6:7], s[4:5]
	v_add_u32_e32 v7, s28, v7
	s_and_b64 s[6:7], s[6:7], vcc
	v_add_u32_e32 v2, s28, v2
	s_waitcnt vmcnt(3)
	v_lshlrev_b32_e32 v1, 8, v1
	s_waitcnt vmcnt(2)
	v_lshlrev_b32_e32 v3, 16, v3
	;; [unrolled: 2-line block ×3, first 2 shown]
	v_and_b32_e32 v3, 0xff0000, v3
	s_waitcnt vmcnt(0)
	v_perm_b32 v1, v1, v6, s10
	v_or3_b32 v1, v1, v3, v4
	buffer_store_dword v1, v8, s[36:39], 0 offen
	buffer_load_dword v1, off, s[0:3], 0 offset:196
	s_nop 0
	buffer_load_dword v3, off, s[0:3], 0 offset:200
	buffer_load_dword v4, off, s[0:3], 0 offset:204
	;; [unrolled: 1-line block ×3, first 2 shown]
	v_cndmask_b32_e64 v8, v5, 0, s[8:9]
	v_add_u32_e32 v8, v8, v7
	v_add_u32_e32 v7, s28, v7
	s_waitcnt vmcnt(3)
	v_lshlrev_b32_e32 v1, 8, v1
	s_waitcnt vmcnt(2)
	v_lshlrev_b32_e32 v3, 16, v3
	;; [unrolled: 2-line block ×3, first 2 shown]
	v_and_b32_e32 v3, 0xff0000, v3
	s_waitcnt vmcnt(0)
	v_perm_b32 v1, v1, v6, s10
	v_or3_b32 v1, v1, v3, v4
	buffer_store_dword v1, v8, s[36:39], 0 offen
	buffer_load_dword v1, off, s[0:3], 0 offset:180
	s_nop 0
	buffer_load_dword v3, off, s[0:3], 0 offset:184
	buffer_load_dword v4, off, s[0:3], 0 offset:188
	;; [unrolled: 1-line block ×3, first 2 shown]
	v_cndmask_b32_e64 v8, v5, 0, s[6:7]
	v_add_u32_e32 v8, v2, v8
	v_cmp_gt_i32_e64 s[6:7], s20, v16
	s_and_b64 s[8:9], s[6:7], vcc
	s_and_b64 s[6:7], s[6:7], s[4:5]
	s_waitcnt vmcnt(3)
	v_lshlrev_b32_e32 v1, 8, v1
	s_waitcnt vmcnt(2)
	v_lshlrev_b32_e32 v3, 16, v3
	s_waitcnt vmcnt(1)
	v_lshlrev_b32_e32 v4, 24, v4
	v_and_b32_e32 v3, 0xff0000, v3
	s_waitcnt vmcnt(0)
	v_perm_b32 v1, v1, v6, s10
	v_or3_b32 v1, v1, v3, v4
	buffer_store_dword v1, v8, s[36:39], 0 offen
	buffer_load_dword v1, off, s[0:3], 0 offset:212
	s_nop 0
	buffer_load_dword v3, off, s[0:3], 0 offset:216
	buffer_load_dword v4, off, s[0:3], 0 offset:220
	;; [unrolled: 1-line block ×3, first 2 shown]
	v_cndmask_b32_e64 v8, v5, 0, s[8:9]
	v_add3_u32 v2, v8, s28, v2
	s_waitcnt vmcnt(3)
	v_lshlrev_b32_e32 v1, 8, v1
	s_waitcnt vmcnt(2)
	v_lshlrev_b32_e32 v3, 16, v3
	;; [unrolled: 2-line block ×3, first 2 shown]
	v_and_b32_e32 v3, 0xff0000, v3
	s_waitcnt vmcnt(0)
	v_perm_b32 v1, v1, v6, s10
	v_or3_b32 v1, v1, v3, v4
	buffer_store_dword v1, v2, s[36:39], 0 offen
	buffer_load_dword v1, off, s[0:3], 0 offset:228
	s_nop 0
	buffer_load_dword v2, off, s[0:3], 0 offset:232
	buffer_load_dword v3, off, s[0:3], 0 offset:236
	;; [unrolled: 1-line block ×3, first 2 shown]
	v_cndmask_b32_e64 v6, v5, 0, s[6:7]
	v_add_u32_e32 v6, v7, v6
	v_cmp_gt_i32_e64 s[6:7], s20, v17
	s_and_b64 s[8:9], s[6:7], s[4:5]
	v_add_u32_e32 v7, s28, v7
	s_and_b64 s[6:7], s[6:7], vcc
	s_waitcnt vmcnt(3)
	v_lshlrev_b32_e32 v1, 8, v1
	s_waitcnt vmcnt(2)
	v_lshlrev_b32_e32 v2, 16, v2
	;; [unrolled: 2-line block ×3, first 2 shown]
	v_and_b32_e32 v2, 0xff0000, v2
	s_waitcnt vmcnt(0)
	v_perm_b32 v1, v1, v4, s10
	v_or3_b32 v1, v1, v2, v3
	buffer_store_dword v1, v6, s[36:39], 0 offen
	buffer_load_dword v1, off, s[0:3], 0 offset:260
	s_nop 0
	buffer_load_dword v2, off, s[0:3], 0 offset:264
	buffer_load_dword v3, off, s[0:3], 0 offset:268
	;; [unrolled: 1-line block ×3, first 2 shown]
	v_cndmask_b32_e64 v6, v5, 0, s[8:9]
	v_add_u32_e32 v6, v7, v6
	v_subrev_u32_e32 v7, s11, v7
	s_waitcnt vmcnt(3)
	v_lshlrev_b32_e32 v1, 8, v1
	s_waitcnt vmcnt(2)
	v_lshlrev_b32_e32 v2, 16, v2
	;; [unrolled: 2-line block ×3, first 2 shown]
	v_and_b32_e32 v2, 0xff0000, v2
	s_waitcnt vmcnt(0)
	v_perm_b32 v1, v1, v4, s10
	v_or3_b32 v1, v1, v2, v3
	buffer_store_dword v1, v6, s[36:39], 0 offen
	buffer_load_dword v1, off, s[0:3], 0 offset:244
	s_nop 0
	buffer_load_dword v2, off, s[0:3], 0 offset:248
	buffer_load_dword v3, off, s[0:3], 0 offset:252
	;; [unrolled: 1-line block ×3, first 2 shown]
	v_cndmask_b32_e64 v6, v5, 0, s[6:7]
	v_add_u32_e32 v6, v7, v6
	v_cmp_gt_i32_e64 s[6:7], s20, v19
	s_and_b64 s[8:9], s[6:7], vcc
	s_and_b64 s[6:7], s[6:7], s[4:5]
	s_waitcnt vmcnt(3)
	v_lshlrev_b32_e32 v1, 8, v1
	s_waitcnt vmcnt(2)
	v_lshlrev_b32_e32 v2, 16, v2
	;; [unrolled: 2-line block ×3, first 2 shown]
	v_and_b32_e32 v2, 0xff0000, v2
	s_waitcnt vmcnt(0)
	v_perm_b32 v1, v1, v4, s10
	v_or3_b32 v1, v1, v2, v3
	buffer_store_dword v1, v6, s[36:39], 0 offen
	buffer_load_dword v1, off, s[0:3], 0 offset:372
	s_nop 0
	buffer_load_dword v2, off, s[0:3], 0 offset:376
	buffer_load_dword v3, off, s[0:3], 0 offset:380
	;; [unrolled: 1-line block ×3, first 2 shown]
	v_cndmask_b32_e64 v6, v5, 0, s[8:9]
	v_add3_u32 v6, v6, s12, v7
	s_add_i32 s8, s29, s28
	v_lshl_add_u32 v7, s8, 6, v7
	s_waitcnt vmcnt(3)
	v_lshlrev_b32_e32 v1, 8, v1
	s_waitcnt vmcnt(2)
	v_lshlrev_b32_e32 v2, 16, v2
	;; [unrolled: 2-line block ×3, first 2 shown]
	v_and_b32_e32 v2, 0xff0000, v2
	s_waitcnt vmcnt(0)
	v_perm_b32 v1, v1, v4, s10
	v_or3_b32 v1, v1, v2, v3
	buffer_store_dword v1, v6, s[36:39], 0 offen
	buffer_load_dword v1, off, s[0:3], 0 offset:388
	s_nop 0
	buffer_load_dword v2, off, s[0:3], 0 offset:392
	buffer_load_dword v3, off, s[0:3], 0 offset:396
	;; [unrolled: 1-line block ×3, first 2 shown]
	v_cndmask_b32_e64 v6, v5, 0, s[6:7]
	v_add_u32_e32 v6, v7, v6
	v_cmp_ge_i32_e64 s[6:7], s20, v19
	s_and_b64 s[6:7], s[6:7], s[4:5]
	v_subrev_u32_e32 v7, s28, v7
	s_waitcnt vmcnt(3)
	v_lshlrev_b32_e32 v1, 8, v1
	s_waitcnt vmcnt(2)
	v_lshlrev_b32_e32 v2, 16, v2
	;; [unrolled: 2-line block ×3, first 2 shown]
	v_and_b32_e32 v2, 0xff0000, v2
	s_waitcnt vmcnt(0)
	v_perm_b32 v1, v1, v4, s10
	v_or3_b32 v1, v1, v2, v3
	buffer_store_dword v1, v6, s[36:39], 0 offen
	buffer_load_dword v1, off, s[0:3], 0 offset:356
	s_nop 0
	buffer_load_dword v2, off, s[0:3], 0 offset:360
	buffer_load_dword v3, off, s[0:3], 0 offset:364
	;; [unrolled: 1-line block ×3, first 2 shown]
	v_cndmask_b32_e64 v6, v5, 0, s[6:7]
	v_add_u32_e32 v6, v7, v6
	v_cmp_gt_i32_e64 s[6:7], s20, v13
	s_and_b64 s[6:7], s[6:7], vcc
	v_subrev_u32_e32 v7, s11, v7
	s_waitcnt vmcnt(3)
	v_lshlrev_b32_e32 v1, 8, v1
	s_waitcnt vmcnt(2)
	v_lshlrev_b32_e32 v2, 16, v2
	;; [unrolled: 2-line block ×3, first 2 shown]
	v_and_b32_e32 v2, 0xff0000, v2
	s_waitcnt vmcnt(0)
	v_perm_b32 v1, v1, v4, s10
	v_or3_b32 v1, v1, v2, v3
	buffer_store_dword v1, v6, s[36:39], 0 offen
	buffer_load_dword v1, off, s[0:3], 0 offset:340
	s_nop 0
	buffer_load_dword v2, off, s[0:3], 0 offset:344
	buffer_load_dword v3, off, s[0:3], 0 offset:348
	;; [unrolled: 1-line block ×3, first 2 shown]
	v_cndmask_b32_e64 v6, v5, 0, s[6:7]
	v_add_u32_e32 v6, v7, v6
	v_cmp_ge_i32_e64 s[6:7], s20, v13
	s_and_b64 s[6:7], s[6:7], vcc
	v_subrev_u32_e32 v7, s28, v7
	s_waitcnt vmcnt(3)
	v_lshlrev_b32_e32 v1, 8, v1
	s_waitcnt vmcnt(2)
	v_lshlrev_b32_e32 v2, 16, v2
	s_waitcnt vmcnt(1)
	v_lshlrev_b32_e32 v3, 24, v3
	v_and_b32_e32 v2, 0xff0000, v2
	s_waitcnt vmcnt(0)
	v_perm_b32 v1, v1, v4, s10
	v_or3_b32 v1, v1, v2, v3
	buffer_store_dword v1, v6, s[36:39], 0 offen
	buffer_load_dword v1, off, s[0:3], 0 offset:308
	s_nop 0
	buffer_load_dword v2, off, s[0:3], 0 offset:312
	buffer_load_dword v3, off, s[0:3], 0 offset:316
	;; [unrolled: 1-line block ×3, first 2 shown]
	v_cndmask_b32_e64 v6, v5, 0, s[6:7]
	v_add_u32_e32 v6, v7, v6
	v_cmp_gt_i32_e64 s[6:7], s20, v12
	s_and_b64 s[6:7], s[6:7], s[4:5]
	v_add_u32_e32 v7, s11, v7
	s_waitcnt vmcnt(3)
	v_lshlrev_b32_e32 v1, 8, v1
	s_waitcnt vmcnt(2)
	v_lshlrev_b32_e32 v2, 16, v2
	;; [unrolled: 2-line block ×3, first 2 shown]
	v_and_b32_e32 v2, 0xff0000, v2
	s_waitcnt vmcnt(0)
	v_perm_b32 v1, v1, v4, s10
	v_or3_b32 v1, v1, v2, v3
	buffer_store_dword v1, v6, s[36:39], 0 offen
	buffer_load_dword v1, off, s[0:3], 0 offset:324
	s_nop 0
	buffer_load_dword v2, off, s[0:3], 0 offset:328
	buffer_load_dword v3, off, s[0:3], 0 offset:332
	;; [unrolled: 1-line block ×3, first 2 shown]
	v_cndmask_b32_e64 v6, v5, 0, s[6:7]
	v_add_u32_e32 v6, v7, v6
	v_cmp_ge_i32_e64 s[6:7], s20, v12
	s_and_b64 s[4:5], s[6:7], s[4:5]
	v_subrev_u32_e32 v7, s28, v7
	s_waitcnt vmcnt(3)
	v_lshlrev_b32_e32 v1, 8, v1
	s_waitcnt vmcnt(2)
	v_lshlrev_b32_e32 v2, 16, v2
	;; [unrolled: 2-line block ×3, first 2 shown]
	v_and_b32_e32 v2, 0xff0000, v2
	s_waitcnt vmcnt(0)
	v_perm_b32 v1, v1, v4, s10
	v_or3_b32 v1, v1, v2, v3
	buffer_store_dword v1, v6, s[36:39], 0 offen
	buffer_load_dword v1, off, s[0:3], 0 offset:292
	s_nop 0
	buffer_load_dword v2, off, s[0:3], 0 offset:296
	buffer_load_dword v3, off, s[0:3], 0 offset:300
	buffer_load_dword v4, off, s[0:3], 0 offset:288
	v_cndmask_b32_e64 v6, v5, 0, s[4:5]
	v_add_u32_e32 v6, v7, v6
	v_cmp_gt_i32_e64 s[4:5], s20, v0
	s_and_b64 s[4:5], s[4:5], vcc
	v_cndmask_b32_e64 v0, v5, 0, s[4:5]
	v_subrev_u32_e32 v0, s11, v0
	v_add_u32_e32 v0, v0, v7
	s_waitcnt vmcnt(3)
	v_lshlrev_b32_e32 v1, 8, v1
	s_waitcnt vmcnt(2)
	v_lshlrev_b32_e32 v2, 16, v2
	;; [unrolled: 2-line block ×3, first 2 shown]
	v_and_b32_e32 v2, 0xff0000, v2
	s_waitcnt vmcnt(0)
	v_perm_b32 v1, v1, v4, s10
	v_or3_b32 v1, v1, v2, v3
	buffer_store_dword v1, v6, s[36:39], 0 offen
	buffer_load_dword v1, off, s[0:3], 0 offset:276
	s_nop 0
	buffer_load_dword v2, off, s[0:3], 0 offset:280
	buffer_load_dword v3, off, s[0:3], 0 offset:284
	;; [unrolled: 1-line block ×3, first 2 shown]
	s_waitcnt vmcnt(3)
	v_lshlrev_b32_e32 v1, 8, v1
	s_waitcnt vmcnt(2)
	v_lshlrev_b32_e32 v2, 16, v2
	;; [unrolled: 2-line block ×3, first 2 shown]
	v_and_b32_e32 v2, 0xff0000, v2
	s_waitcnt vmcnt(0)
	v_perm_b32 v1, v1, v4, s10
	v_or3_b32 v1, v1, v2, v3
	buffer_store_dword v1, v0, s[36:39], 0 offen
	s_endpgm
	.section	.rodata,"a",@progbits
	.p2align	6, 0x0
	.amdhsa_kernel _ZN2ck16tensor_operation6device12_GLOBAL__N_137kernel_grouped_conv_fwd_dl_multiple_dINS_32GridwiseGemmDlMultipleD_km_kn_mnILi256EaiNS_5TupleIJaEEEaNS0_12element_wise11PassThroughES8_NS7_7AddReluELNS_25InMemoryDataOperationEnumE0ENS_16TensorDescriptorINS5_IJNS_5EmbedINS5_IJiiiEEESD_Lb0EEENS_11PassThroughIiEENS_3PadIiiiLb0EEESG_SG_NSC_INS5_IJiiEEESJ_Lb0EEESG_NS_23Merge_v2_magic_divisionISJ_EESM_NS_8RightPadIiiLb0EEESO_NS_7UnMergeISJ_Lb0EEESG_EEENS5_IJNS_8SequenceIJLi0EEEENSS_IJLi1EEEENSS_IJLi2EEEENSS_IJLi3EEEENSS_IJLi4EEEENSS_IJLi5EEEENSS_IJLi6EEEENSS_IJLi7ELi9EEEENSS_IJLi8ELi10EEEENSS_IJLi11EEEENSS_IJLi12EEEENSS_IJLi14EEEENSS_IJLi13EEEEEEENS5_IJNSS_IJLi1ELi2ELi3EEEESX_SY_SZ_NSS_IJLi7EEEENSS_IJLi8ELi9EEEENSS_IJLi10EEEES12_S13_S15_S14_NSS_IJLi15ELi16EEEENSS_IJLi17EEEEEEENSS_IJLi15ELi17ELi16EEEElEENSB_INS5_IJSQ_SO_SO_SQ_SG_EEENS5_IJST_SU_SV_SX_SW_EEENS5_IJNSS_IJLi1ELi2EEEESW_SX_NSS_IJLi5ELi6EEEES18_EEENSS_IJLi5ELi7ELi6EEEElEENSB_INS5_IJSK_SO_SO_EEENS5_IJST_SU_SV_EEENS5_IJS1I_SW_SX_EEENSS_IJLi3ELi4EEEElEELi128ELi128ELi16ELi4ELi4ELi4ELi1ENSS_IJLi8ELi2EEEES1S_NSS_IJLi8ELi1ELi1ELi4EEEENSS_IJLi2ELi1ELi128ELi1EEEENSS_IJLi1ELi2ELi0ELi3EEEES1V_NSS_IJLi4ELi1ELi1ELi4EEEES1V_NSS_IJLi1ELi1ELi1ELi4EEEES1T_S1U_S1V_S1V_S1W_S1V_S1X_NSS_IJLi0ELi1ELi2ELi3ELi4ELi5EEEELi5ELi4EEEaNS5_IJPKaEEEaS8_S8_S9_NSB_INS5_IJSE_SG_SI_SG_SG_SK_SG_SM_SM_SO_SO_SQ_SG_SG_NSP_INS5_IJiNS_17integral_constantIiLi128EEEEEELb0EEENSF_INS23_IiLi4EEEEEEEENS5_IJST_SU_SV_SW_SX_SY_SZ_S10_S11_S12_S13_S14_S15_NSS_IJLi15EEEES1C_NSS_IJLi16EEEEEEENS5_IJS17_SX_SY_SZ_S18_S19_S1A_S12_S13_S15_S14_S1B_S1C_NSS_IJLi18EEEENSS_IJLi19ELi20EEEENSS_IJLi21EEEEEEENSS_IJLi18ELi19ELi20ELi21EEEElEENSB_INS5_IJSQ_SO_SO_SQ_SG_SG_S26_S28_EEENS5_IJST_SU_SV_SX_SW_SY_S18_SZ_EEENS5_IJS1I_SW_SX_S1J_S18_NSS_IJLi8EEEENSS_IJLi9ELi10EEEES12_EEENSS_IJLi8ELi9ELi10ELi11EEEElEENS5_IJNSB_INS5_IJSK_SO_SO_NSP_INS5_IJiNS23_IiLi2EEENS23_IiLi64EEEEEELb0EEES2T_EEENS5_IJST_SU_SV_SW_SX_EEENS5_IJS1I_SW_SX_NSS_IJLi5ELi6ELi7EEEENSS_IJLi8ELi9ELi10EEEEEEENSS_IJLi5ELi6ELi7ELi8ELi9ELi10EEEElEEEEES30_NS_31BlockToCTileMap_M00_N00_M01_N01ILi128ELi128ES1R_Lb0EEENS1_30ComputePtrOffsetOfStridedBatchILi1ELi1ELi1EvEELb1ELb1EEEvPKT0_S38_T1_PT2_T3_T4_T5_iT6_T7_T8_T9_T10_T11_
		.amdhsa_group_segment_fixed_size 32768
		.amdhsa_private_segment_fixed_size 480
		.amdhsa_kernarg_size 904
		.amdhsa_user_sgpr_count 8
		.amdhsa_user_sgpr_private_segment_buffer 1
		.amdhsa_user_sgpr_dispatch_ptr 0
		.amdhsa_user_sgpr_queue_ptr 0
		.amdhsa_user_sgpr_kernarg_segment_ptr 1
		.amdhsa_user_sgpr_dispatch_id 0
		.amdhsa_user_sgpr_flat_scratch_init 1
		.amdhsa_user_sgpr_kernarg_preload_length 0
		.amdhsa_user_sgpr_kernarg_preload_offset 0
		.amdhsa_user_sgpr_private_segment_size 0
		.amdhsa_uses_dynamic_stack 0
		.amdhsa_system_sgpr_private_segment_wavefront_offset 1
		.amdhsa_system_sgpr_workgroup_id_x 1
		.amdhsa_system_sgpr_workgroup_id_y 0
		.amdhsa_system_sgpr_workgroup_id_z 0
		.amdhsa_system_sgpr_workgroup_info 0
		.amdhsa_system_vgpr_workitem_id 0
		.amdhsa_next_free_vgpr 108
		.amdhsa_next_free_sgpr 94
		.amdhsa_accum_offset 108
		.amdhsa_reserve_vcc 1
		.amdhsa_reserve_flat_scratch 1
		.amdhsa_float_round_mode_32 0
		.amdhsa_float_round_mode_16_64 0
		.amdhsa_float_denorm_mode_32 3
		.amdhsa_float_denorm_mode_16_64 3
		.amdhsa_dx10_clamp 1
		.amdhsa_ieee_mode 1
		.amdhsa_fp16_overflow 0
		.amdhsa_tg_split 0
		.amdhsa_exception_fp_ieee_invalid_op 0
		.amdhsa_exception_fp_denorm_src 0
		.amdhsa_exception_fp_ieee_div_zero 0
		.amdhsa_exception_fp_ieee_overflow 0
		.amdhsa_exception_fp_ieee_underflow 0
		.amdhsa_exception_fp_ieee_inexact 0
		.amdhsa_exception_int_div_zero 0
	.end_amdhsa_kernel
	.section	.text._ZN2ck16tensor_operation6device12_GLOBAL__N_137kernel_grouped_conv_fwd_dl_multiple_dINS_32GridwiseGemmDlMultipleD_km_kn_mnILi256EaiNS_5TupleIJaEEEaNS0_12element_wise11PassThroughES8_NS7_7AddReluELNS_25InMemoryDataOperationEnumE0ENS_16TensorDescriptorINS5_IJNS_5EmbedINS5_IJiiiEEESD_Lb0EEENS_11PassThroughIiEENS_3PadIiiiLb0EEESG_SG_NSC_INS5_IJiiEEESJ_Lb0EEESG_NS_23Merge_v2_magic_divisionISJ_EESM_NS_8RightPadIiiLb0EEESO_NS_7UnMergeISJ_Lb0EEESG_EEENS5_IJNS_8SequenceIJLi0EEEENSS_IJLi1EEEENSS_IJLi2EEEENSS_IJLi3EEEENSS_IJLi4EEEENSS_IJLi5EEEENSS_IJLi6EEEENSS_IJLi7ELi9EEEENSS_IJLi8ELi10EEEENSS_IJLi11EEEENSS_IJLi12EEEENSS_IJLi14EEEENSS_IJLi13EEEEEEENS5_IJNSS_IJLi1ELi2ELi3EEEESX_SY_SZ_NSS_IJLi7EEEENSS_IJLi8ELi9EEEENSS_IJLi10EEEES12_S13_S15_S14_NSS_IJLi15ELi16EEEENSS_IJLi17EEEEEEENSS_IJLi15ELi17ELi16EEEElEENSB_INS5_IJSQ_SO_SO_SQ_SG_EEENS5_IJST_SU_SV_SX_SW_EEENS5_IJNSS_IJLi1ELi2EEEESW_SX_NSS_IJLi5ELi6EEEES18_EEENSS_IJLi5ELi7ELi6EEEElEENSB_INS5_IJSK_SO_SO_EEENS5_IJST_SU_SV_EEENS5_IJS1I_SW_SX_EEENSS_IJLi3ELi4EEEElEELi128ELi128ELi16ELi4ELi4ELi4ELi1ENSS_IJLi8ELi2EEEES1S_NSS_IJLi8ELi1ELi1ELi4EEEENSS_IJLi2ELi1ELi128ELi1EEEENSS_IJLi1ELi2ELi0ELi3EEEES1V_NSS_IJLi4ELi1ELi1ELi4EEEES1V_NSS_IJLi1ELi1ELi1ELi4EEEES1T_S1U_S1V_S1V_S1W_S1V_S1X_NSS_IJLi0ELi1ELi2ELi3ELi4ELi5EEEELi5ELi4EEEaNS5_IJPKaEEEaS8_S8_S9_NSB_INS5_IJSE_SG_SI_SG_SG_SK_SG_SM_SM_SO_SO_SQ_SG_SG_NSP_INS5_IJiNS_17integral_constantIiLi128EEEEEELb0EEENSF_INS23_IiLi4EEEEEEEENS5_IJST_SU_SV_SW_SX_SY_SZ_S10_S11_S12_S13_S14_S15_NSS_IJLi15EEEES1C_NSS_IJLi16EEEEEEENS5_IJS17_SX_SY_SZ_S18_S19_S1A_S12_S13_S15_S14_S1B_S1C_NSS_IJLi18EEEENSS_IJLi19ELi20EEEENSS_IJLi21EEEEEEENSS_IJLi18ELi19ELi20ELi21EEEElEENSB_INS5_IJSQ_SO_SO_SQ_SG_SG_S26_S28_EEENS5_IJST_SU_SV_SX_SW_SY_S18_SZ_EEENS5_IJS1I_SW_SX_S1J_S18_NSS_IJLi8EEEENSS_IJLi9ELi10EEEES12_EEENSS_IJLi8ELi9ELi10ELi11EEEElEENS5_IJNSB_INS5_IJSK_SO_SO_NSP_INS5_IJiNS23_IiLi2EEENS23_IiLi64EEEEEELb0EEES2T_EEENS5_IJST_SU_SV_SW_SX_EEENS5_IJS1I_SW_SX_NSS_IJLi5ELi6ELi7EEEENSS_IJLi8ELi9ELi10EEEEEEENSS_IJLi5ELi6ELi7ELi8ELi9ELi10EEEElEEEEES30_NS_31BlockToCTileMap_M00_N00_M01_N01ILi128ELi128ES1R_Lb0EEENS1_30ComputePtrOffsetOfStridedBatchILi1ELi1ELi1EvEELb1ELb1EEEvPKT0_S38_T1_PT2_T3_T4_T5_iT6_T7_T8_T9_T10_T11_,"axG",@progbits,_ZN2ck16tensor_operation6device12_GLOBAL__N_137kernel_grouped_conv_fwd_dl_multiple_dINS_32GridwiseGemmDlMultipleD_km_kn_mnILi256EaiNS_5TupleIJaEEEaNS0_12element_wise11PassThroughES8_NS7_7AddReluELNS_25InMemoryDataOperationEnumE0ENS_16TensorDescriptorINS5_IJNS_5EmbedINS5_IJiiiEEESD_Lb0EEENS_11PassThroughIiEENS_3PadIiiiLb0EEESG_SG_NSC_INS5_IJiiEEESJ_Lb0EEESG_NS_23Merge_v2_magic_divisionISJ_EESM_NS_8RightPadIiiLb0EEESO_NS_7UnMergeISJ_Lb0EEESG_EEENS5_IJNS_8SequenceIJLi0EEEENSS_IJLi1EEEENSS_IJLi2EEEENSS_IJLi3EEEENSS_IJLi4EEEENSS_IJLi5EEEENSS_IJLi6EEEENSS_IJLi7ELi9EEEENSS_IJLi8ELi10EEEENSS_IJLi11EEEENSS_IJLi12EEEENSS_IJLi14EEEENSS_IJLi13EEEEEEENS5_IJNSS_IJLi1ELi2ELi3EEEESX_SY_SZ_NSS_IJLi7EEEENSS_IJLi8ELi9EEEENSS_IJLi10EEEES12_S13_S15_S14_NSS_IJLi15ELi16EEEENSS_IJLi17EEEEEEENSS_IJLi15ELi17ELi16EEEElEENSB_INS5_IJSQ_SO_SO_SQ_SG_EEENS5_IJST_SU_SV_SX_SW_EEENS5_IJNSS_IJLi1ELi2EEEESW_SX_NSS_IJLi5ELi6EEEES18_EEENSS_IJLi5ELi7ELi6EEEElEENSB_INS5_IJSK_SO_SO_EEENS5_IJST_SU_SV_EEENS5_IJS1I_SW_SX_EEENSS_IJLi3ELi4EEEElEELi128ELi128ELi16ELi4ELi4ELi4ELi1ENSS_IJLi8ELi2EEEES1S_NSS_IJLi8ELi1ELi1ELi4EEEENSS_IJLi2ELi1ELi128ELi1EEEENSS_IJLi1ELi2ELi0ELi3EEEES1V_NSS_IJLi4ELi1ELi1ELi4EEEES1V_NSS_IJLi1ELi1ELi1ELi4EEEES1T_S1U_S1V_S1V_S1W_S1V_S1X_NSS_IJLi0ELi1ELi2ELi3ELi4ELi5EEEELi5ELi4EEEaNS5_IJPKaEEEaS8_S8_S9_NSB_INS5_IJSE_SG_SI_SG_SG_SK_SG_SM_SM_SO_SO_SQ_SG_SG_NSP_INS5_IJiNS_17integral_constantIiLi128EEEEEELb0EEENSF_INS23_IiLi4EEEEEEEENS5_IJST_SU_SV_SW_SX_SY_SZ_S10_S11_S12_S13_S14_S15_NSS_IJLi15EEEES1C_NSS_IJLi16EEEEEEENS5_IJS17_SX_SY_SZ_S18_S19_S1A_S12_S13_S15_S14_S1B_S1C_NSS_IJLi18EEEENSS_IJLi19ELi20EEEENSS_IJLi21EEEEEEENSS_IJLi18ELi19ELi20ELi21EEEElEENSB_INS5_IJSQ_SO_SO_SQ_SG_SG_S26_S28_EEENS5_IJST_SU_SV_SX_SW_SY_S18_SZ_EEENS5_IJS1I_SW_SX_S1J_S18_NSS_IJLi8EEEENSS_IJLi9ELi10EEEES12_EEENSS_IJLi8ELi9ELi10ELi11EEEElEENS5_IJNSB_INS5_IJSK_SO_SO_NSP_INS5_IJiNS23_IiLi2EEENS23_IiLi64EEEEEELb0EEES2T_EEENS5_IJST_SU_SV_SW_SX_EEENS5_IJS1I_SW_SX_NSS_IJLi5ELi6ELi7EEEENSS_IJLi8ELi9ELi10EEEEEEENSS_IJLi5ELi6ELi7ELi8ELi9ELi10EEEElEEEEES30_NS_31BlockToCTileMap_M00_N00_M01_N01ILi128ELi128ES1R_Lb0EEENS1_30ComputePtrOffsetOfStridedBatchILi1ELi1ELi1EvEELb1ELb1EEEvPKT0_S38_T1_PT2_T3_T4_T5_iT6_T7_T8_T9_T10_T11_,comdat
.Lfunc_end2:
	.size	_ZN2ck16tensor_operation6device12_GLOBAL__N_137kernel_grouped_conv_fwd_dl_multiple_dINS_32GridwiseGemmDlMultipleD_km_kn_mnILi256EaiNS_5TupleIJaEEEaNS0_12element_wise11PassThroughES8_NS7_7AddReluELNS_25InMemoryDataOperationEnumE0ENS_16TensorDescriptorINS5_IJNS_5EmbedINS5_IJiiiEEESD_Lb0EEENS_11PassThroughIiEENS_3PadIiiiLb0EEESG_SG_NSC_INS5_IJiiEEESJ_Lb0EEESG_NS_23Merge_v2_magic_divisionISJ_EESM_NS_8RightPadIiiLb0EEESO_NS_7UnMergeISJ_Lb0EEESG_EEENS5_IJNS_8SequenceIJLi0EEEENSS_IJLi1EEEENSS_IJLi2EEEENSS_IJLi3EEEENSS_IJLi4EEEENSS_IJLi5EEEENSS_IJLi6EEEENSS_IJLi7ELi9EEEENSS_IJLi8ELi10EEEENSS_IJLi11EEEENSS_IJLi12EEEENSS_IJLi14EEEENSS_IJLi13EEEEEEENS5_IJNSS_IJLi1ELi2ELi3EEEESX_SY_SZ_NSS_IJLi7EEEENSS_IJLi8ELi9EEEENSS_IJLi10EEEES12_S13_S15_S14_NSS_IJLi15ELi16EEEENSS_IJLi17EEEEEEENSS_IJLi15ELi17ELi16EEEElEENSB_INS5_IJSQ_SO_SO_SQ_SG_EEENS5_IJST_SU_SV_SX_SW_EEENS5_IJNSS_IJLi1ELi2EEEESW_SX_NSS_IJLi5ELi6EEEES18_EEENSS_IJLi5ELi7ELi6EEEElEENSB_INS5_IJSK_SO_SO_EEENS5_IJST_SU_SV_EEENS5_IJS1I_SW_SX_EEENSS_IJLi3ELi4EEEElEELi128ELi128ELi16ELi4ELi4ELi4ELi1ENSS_IJLi8ELi2EEEES1S_NSS_IJLi8ELi1ELi1ELi4EEEENSS_IJLi2ELi1ELi128ELi1EEEENSS_IJLi1ELi2ELi0ELi3EEEES1V_NSS_IJLi4ELi1ELi1ELi4EEEES1V_NSS_IJLi1ELi1ELi1ELi4EEEES1T_S1U_S1V_S1V_S1W_S1V_S1X_NSS_IJLi0ELi1ELi2ELi3ELi4ELi5EEEELi5ELi4EEEaNS5_IJPKaEEEaS8_S8_S9_NSB_INS5_IJSE_SG_SI_SG_SG_SK_SG_SM_SM_SO_SO_SQ_SG_SG_NSP_INS5_IJiNS_17integral_constantIiLi128EEEEEELb0EEENSF_INS23_IiLi4EEEEEEEENS5_IJST_SU_SV_SW_SX_SY_SZ_S10_S11_S12_S13_S14_S15_NSS_IJLi15EEEES1C_NSS_IJLi16EEEEEEENS5_IJS17_SX_SY_SZ_S18_S19_S1A_S12_S13_S15_S14_S1B_S1C_NSS_IJLi18EEEENSS_IJLi19ELi20EEEENSS_IJLi21EEEEEEENSS_IJLi18ELi19ELi20ELi21EEEElEENSB_INS5_IJSQ_SO_SO_SQ_SG_SG_S26_S28_EEENS5_IJST_SU_SV_SX_SW_SY_S18_SZ_EEENS5_IJS1I_SW_SX_S1J_S18_NSS_IJLi8EEEENSS_IJLi9ELi10EEEES12_EEENSS_IJLi8ELi9ELi10ELi11EEEElEENS5_IJNSB_INS5_IJSK_SO_SO_NSP_INS5_IJiNS23_IiLi2EEENS23_IiLi64EEEEEELb0EEES2T_EEENS5_IJST_SU_SV_SW_SX_EEENS5_IJS1I_SW_SX_NSS_IJLi5ELi6ELi7EEEENSS_IJLi8ELi9ELi10EEEEEEENSS_IJLi5ELi6ELi7ELi8ELi9ELi10EEEElEEEEES30_NS_31BlockToCTileMap_M00_N00_M01_N01ILi128ELi128ES1R_Lb0EEENS1_30ComputePtrOffsetOfStridedBatchILi1ELi1ELi1EvEELb1ELb1EEEvPKT0_S38_T1_PT2_T3_T4_T5_iT6_T7_T8_T9_T10_T11_, .Lfunc_end2-_ZN2ck16tensor_operation6device12_GLOBAL__N_137kernel_grouped_conv_fwd_dl_multiple_dINS_32GridwiseGemmDlMultipleD_km_kn_mnILi256EaiNS_5TupleIJaEEEaNS0_12element_wise11PassThroughES8_NS7_7AddReluELNS_25InMemoryDataOperationEnumE0ENS_16TensorDescriptorINS5_IJNS_5EmbedINS5_IJiiiEEESD_Lb0EEENS_11PassThroughIiEENS_3PadIiiiLb0EEESG_SG_NSC_INS5_IJiiEEESJ_Lb0EEESG_NS_23Merge_v2_magic_divisionISJ_EESM_NS_8RightPadIiiLb0EEESO_NS_7UnMergeISJ_Lb0EEESG_EEENS5_IJNS_8SequenceIJLi0EEEENSS_IJLi1EEEENSS_IJLi2EEEENSS_IJLi3EEEENSS_IJLi4EEEENSS_IJLi5EEEENSS_IJLi6EEEENSS_IJLi7ELi9EEEENSS_IJLi8ELi10EEEENSS_IJLi11EEEENSS_IJLi12EEEENSS_IJLi14EEEENSS_IJLi13EEEEEEENS5_IJNSS_IJLi1ELi2ELi3EEEESX_SY_SZ_NSS_IJLi7EEEENSS_IJLi8ELi9EEEENSS_IJLi10EEEES12_S13_S15_S14_NSS_IJLi15ELi16EEEENSS_IJLi17EEEEEEENSS_IJLi15ELi17ELi16EEEElEENSB_INS5_IJSQ_SO_SO_SQ_SG_EEENS5_IJST_SU_SV_SX_SW_EEENS5_IJNSS_IJLi1ELi2EEEESW_SX_NSS_IJLi5ELi6EEEES18_EEENSS_IJLi5ELi7ELi6EEEElEENSB_INS5_IJSK_SO_SO_EEENS5_IJST_SU_SV_EEENS5_IJS1I_SW_SX_EEENSS_IJLi3ELi4EEEElEELi128ELi128ELi16ELi4ELi4ELi4ELi1ENSS_IJLi8ELi2EEEES1S_NSS_IJLi8ELi1ELi1ELi4EEEENSS_IJLi2ELi1ELi128ELi1EEEENSS_IJLi1ELi2ELi0ELi3EEEES1V_NSS_IJLi4ELi1ELi1ELi4EEEES1V_NSS_IJLi1ELi1ELi1ELi4EEEES1T_S1U_S1V_S1V_S1W_S1V_S1X_NSS_IJLi0ELi1ELi2ELi3ELi4ELi5EEEELi5ELi4EEEaNS5_IJPKaEEEaS8_S8_S9_NSB_INS5_IJSE_SG_SI_SG_SG_SK_SG_SM_SM_SO_SO_SQ_SG_SG_NSP_INS5_IJiNS_17integral_constantIiLi128EEEEEELb0EEENSF_INS23_IiLi4EEEEEEEENS5_IJST_SU_SV_SW_SX_SY_SZ_S10_S11_S12_S13_S14_S15_NSS_IJLi15EEEES1C_NSS_IJLi16EEEEEEENS5_IJS17_SX_SY_SZ_S18_S19_S1A_S12_S13_S15_S14_S1B_S1C_NSS_IJLi18EEEENSS_IJLi19ELi20EEEENSS_IJLi21EEEEEEENSS_IJLi18ELi19ELi20ELi21EEEElEENSB_INS5_IJSQ_SO_SO_SQ_SG_SG_S26_S28_EEENS5_IJST_SU_SV_SX_SW_SY_S18_SZ_EEENS5_IJS1I_SW_SX_S1J_S18_NSS_IJLi8EEEENSS_IJLi9ELi10EEEES12_EEENSS_IJLi8ELi9ELi10ELi11EEEElEENS5_IJNSB_INS5_IJSK_SO_SO_NSP_INS5_IJiNS23_IiLi2EEENS23_IiLi64EEEEEELb0EEES2T_EEENS5_IJST_SU_SV_SW_SX_EEENS5_IJS1I_SW_SX_NSS_IJLi5ELi6ELi7EEEENSS_IJLi8ELi9ELi10EEEEEEENSS_IJLi5ELi6ELi7ELi8ELi9ELi10EEEElEEEEES30_NS_31BlockToCTileMap_M00_N00_M01_N01ILi128ELi128ES1R_Lb0EEENS1_30ComputePtrOffsetOfStridedBatchILi1ELi1ELi1EvEELb1ELb1EEEvPKT0_S38_T1_PT2_T3_T4_T5_iT6_T7_T8_T9_T10_T11_
                                        ; -- End function
	.section	.AMDGPU.csdata,"",@progbits
; Kernel info:
; codeLenInByte = 16888
; NumSgprs: 100
; NumVgprs: 108
; NumAgprs: 0
; TotalNumVgprs: 108
; ScratchSize: 480
; MemoryBound: 0
; FloatMode: 240
; IeeeMode: 1
; LDSByteSize: 32768 bytes/workgroup (compile time only)
; SGPRBlocks: 12
; VGPRBlocks: 13
; NumSGPRsForWavesPerEU: 100
; NumVGPRsForWavesPerEU: 108
; AccumOffset: 108
; Occupancy: 2
; WaveLimiterHint : 1
; COMPUTE_PGM_RSRC2:SCRATCH_EN: 1
; COMPUTE_PGM_RSRC2:USER_SGPR: 8
; COMPUTE_PGM_RSRC2:TRAP_HANDLER: 0
; COMPUTE_PGM_RSRC2:TGID_X_EN: 1
; COMPUTE_PGM_RSRC2:TGID_Y_EN: 0
; COMPUTE_PGM_RSRC2:TGID_Z_EN: 0
; COMPUTE_PGM_RSRC2:TIDIG_COMP_CNT: 0
; COMPUTE_PGM_RSRC3_GFX90A:ACCUM_OFFSET: 26
; COMPUTE_PGM_RSRC3_GFX90A:TG_SPLIT: 0
	.section	.text._ZN2ck16tensor_operation6device12_GLOBAL__N_137kernel_grouped_conv_fwd_dl_multiple_dINS_32GridwiseGemmDlMultipleD_km_kn_mnILi256EaiNS_5TupleIJaEEEaNS0_12element_wise11PassThroughES8_NS7_7AddReluELNS_25InMemoryDataOperationEnumE0ENS_16TensorDescriptorINS5_IJNS_5EmbedINS5_IJiiiEEESD_Lb0EEENS_11PassThroughIiEENS_3PadIiiiLb0EEESG_SG_NSC_INS5_IJiiEEESJ_Lb0EEESG_NS_23Merge_v2_magic_divisionISJ_EESM_NS_8RightPadIiiLb0EEESO_NS_7UnMergeISJ_Lb0EEESG_EEENS5_IJNS_8SequenceIJLi0EEEENSS_IJLi1EEEENSS_IJLi2EEEENSS_IJLi3EEEENSS_IJLi4EEEENSS_IJLi5EEEENSS_IJLi6EEEENSS_IJLi7ELi9EEEENSS_IJLi8ELi10EEEENSS_IJLi11EEEENSS_IJLi12EEEENSS_IJLi14EEEENSS_IJLi13EEEEEEENS5_IJNSS_IJLi1ELi2ELi3EEEESX_SY_SZ_NSS_IJLi7EEEENSS_IJLi8ELi9EEEENSS_IJLi10EEEES12_S13_S15_S14_NSS_IJLi15ELi16EEEENSS_IJLi17EEEEEEENSS_IJLi15ELi17ELi16EEEElEENSB_INS5_IJSQ_SO_SO_SQ_SG_EEENS5_IJST_SU_SV_SX_SW_EEENS5_IJNSS_IJLi1ELi2EEEESW_SX_NSS_IJLi5ELi6EEEES18_EEENSS_IJLi5ELi7ELi6EEEElEENSB_INS5_IJSK_SO_SO_EEENS5_IJST_SU_SV_EEENS5_IJS1I_SW_SX_EEENSS_IJLi3ELi4EEEElEELi128ELi128ELi16ELi4ELi4ELi4ELi1ENSS_IJLi8ELi2EEEES1S_NSS_IJLi8ELi1ELi1ELi4EEEENSS_IJLi2ELi1ELi128ELi1EEEENSS_IJLi1ELi2ELi0ELi3EEEES1V_NSS_IJLi4ELi1ELi1ELi4EEEES1V_NSS_IJLi1ELi1ELi1ELi4EEEES1T_S1U_S1V_S1V_S1W_S1V_S1X_NSS_IJLi0ELi1ELi2ELi3ELi4ELi5EEEELi5ELi4EEEaNS5_IJPKaEEEaS8_S8_S9_NSB_INS5_IJSE_SG_SI_SG_SG_SK_SG_SM_SM_SO_SO_SQ_SG_SG_NSP_INS5_IJiNS_17integral_constantIiLi128EEEEEELb0EEENSF_INS23_IiLi4EEEEEEEENS5_IJST_SU_SV_SW_SX_SY_SZ_S10_S11_S12_S13_S14_S15_NSS_IJLi15EEEES1C_NSS_IJLi16EEEEEEENS5_IJS17_SX_SY_SZ_S18_S19_S1A_S12_S13_S15_S14_S1B_S1C_NSS_IJLi18EEEENSS_IJLi19ELi20EEEENSS_IJLi21EEEEEEENSS_IJLi18ELi19ELi20ELi21EEEElEENSB_INS5_IJSQ_SO_SO_SQ_SG_SG_S26_S28_EEENS5_IJST_SU_SV_SX_SW_SY_S18_SZ_EEENS5_IJS1I_SW_SX_S1J_S18_NSS_IJLi8EEEENSS_IJLi9ELi10EEEES12_EEENSS_IJLi8ELi9ELi10ELi11EEEElEENS5_IJNSB_INS5_IJSK_SO_SO_NSP_INS5_IJiNS23_IiLi2EEENS23_IiLi64EEEEEELb0EEES2T_EEENS5_IJST_SU_SV_SW_SX_EEENS5_IJS1I_SW_SX_NSS_IJLi5ELi6ELi7EEEENSS_IJLi8ELi9ELi10EEEEEEENSS_IJLi5ELi6ELi7ELi8ELi9ELi10EEEElEEEEES30_NS_31BlockToCTileMap_M00_N00_M01_N01ILi128ELi128ES1R_Lb0EEENS1_30ComputePtrOffsetOfStridedBatchILi1ELi1ELi1EvEELb1ELb0EEEvPKT0_S38_T1_PT2_T3_T4_T5_iT6_T7_T8_T9_T10_T11_,"axG",@progbits,_ZN2ck16tensor_operation6device12_GLOBAL__N_137kernel_grouped_conv_fwd_dl_multiple_dINS_32GridwiseGemmDlMultipleD_km_kn_mnILi256EaiNS_5TupleIJaEEEaNS0_12element_wise11PassThroughES8_NS7_7AddReluELNS_25InMemoryDataOperationEnumE0ENS_16TensorDescriptorINS5_IJNS_5EmbedINS5_IJiiiEEESD_Lb0EEENS_11PassThroughIiEENS_3PadIiiiLb0EEESG_SG_NSC_INS5_IJiiEEESJ_Lb0EEESG_NS_23Merge_v2_magic_divisionISJ_EESM_NS_8RightPadIiiLb0EEESO_NS_7UnMergeISJ_Lb0EEESG_EEENS5_IJNS_8SequenceIJLi0EEEENSS_IJLi1EEEENSS_IJLi2EEEENSS_IJLi3EEEENSS_IJLi4EEEENSS_IJLi5EEEENSS_IJLi6EEEENSS_IJLi7ELi9EEEENSS_IJLi8ELi10EEEENSS_IJLi11EEEENSS_IJLi12EEEENSS_IJLi14EEEENSS_IJLi13EEEEEEENS5_IJNSS_IJLi1ELi2ELi3EEEESX_SY_SZ_NSS_IJLi7EEEENSS_IJLi8ELi9EEEENSS_IJLi10EEEES12_S13_S15_S14_NSS_IJLi15ELi16EEEENSS_IJLi17EEEEEEENSS_IJLi15ELi17ELi16EEEElEENSB_INS5_IJSQ_SO_SO_SQ_SG_EEENS5_IJST_SU_SV_SX_SW_EEENS5_IJNSS_IJLi1ELi2EEEESW_SX_NSS_IJLi5ELi6EEEES18_EEENSS_IJLi5ELi7ELi6EEEElEENSB_INS5_IJSK_SO_SO_EEENS5_IJST_SU_SV_EEENS5_IJS1I_SW_SX_EEENSS_IJLi3ELi4EEEElEELi128ELi128ELi16ELi4ELi4ELi4ELi1ENSS_IJLi8ELi2EEEES1S_NSS_IJLi8ELi1ELi1ELi4EEEENSS_IJLi2ELi1ELi128ELi1EEEENSS_IJLi1ELi2ELi0ELi3EEEES1V_NSS_IJLi4ELi1ELi1ELi4EEEES1V_NSS_IJLi1ELi1ELi1ELi4EEEES1T_S1U_S1V_S1V_S1W_S1V_S1X_NSS_IJLi0ELi1ELi2ELi3ELi4ELi5EEEELi5ELi4EEEaNS5_IJPKaEEEaS8_S8_S9_NSB_INS5_IJSE_SG_SI_SG_SG_SK_SG_SM_SM_SO_SO_SQ_SG_SG_NSP_INS5_IJiNS_17integral_constantIiLi128EEEEEELb0EEENSF_INS23_IiLi4EEEEEEEENS5_IJST_SU_SV_SW_SX_SY_SZ_S10_S11_S12_S13_S14_S15_NSS_IJLi15EEEES1C_NSS_IJLi16EEEEEEENS5_IJS17_SX_SY_SZ_S18_S19_S1A_S12_S13_S15_S14_S1B_S1C_NSS_IJLi18EEEENSS_IJLi19ELi20EEEENSS_IJLi21EEEEEEENSS_IJLi18ELi19ELi20ELi21EEEElEENSB_INS5_IJSQ_SO_SO_SQ_SG_SG_S26_S28_EEENS5_IJST_SU_SV_SX_SW_SY_S18_SZ_EEENS5_IJS1I_SW_SX_S1J_S18_NSS_IJLi8EEEENSS_IJLi9ELi10EEEES12_EEENSS_IJLi8ELi9ELi10ELi11EEEElEENS5_IJNSB_INS5_IJSK_SO_SO_NSP_INS5_IJiNS23_IiLi2EEENS23_IiLi64EEEEEELb0EEES2T_EEENS5_IJST_SU_SV_SW_SX_EEENS5_IJS1I_SW_SX_NSS_IJLi5ELi6ELi7EEEENSS_IJLi8ELi9ELi10EEEEEEENSS_IJLi5ELi6ELi7ELi8ELi9ELi10EEEElEEEEES30_NS_31BlockToCTileMap_M00_N00_M01_N01ILi128ELi128ES1R_Lb0EEENS1_30ComputePtrOffsetOfStridedBatchILi1ELi1ELi1EvEELb1ELb0EEEvPKT0_S38_T1_PT2_T3_T4_T5_iT6_T7_T8_T9_T10_T11_,comdat
	.globl	_ZN2ck16tensor_operation6device12_GLOBAL__N_137kernel_grouped_conv_fwd_dl_multiple_dINS_32GridwiseGemmDlMultipleD_km_kn_mnILi256EaiNS_5TupleIJaEEEaNS0_12element_wise11PassThroughES8_NS7_7AddReluELNS_25InMemoryDataOperationEnumE0ENS_16TensorDescriptorINS5_IJNS_5EmbedINS5_IJiiiEEESD_Lb0EEENS_11PassThroughIiEENS_3PadIiiiLb0EEESG_SG_NSC_INS5_IJiiEEESJ_Lb0EEESG_NS_23Merge_v2_magic_divisionISJ_EESM_NS_8RightPadIiiLb0EEESO_NS_7UnMergeISJ_Lb0EEESG_EEENS5_IJNS_8SequenceIJLi0EEEENSS_IJLi1EEEENSS_IJLi2EEEENSS_IJLi3EEEENSS_IJLi4EEEENSS_IJLi5EEEENSS_IJLi6EEEENSS_IJLi7ELi9EEEENSS_IJLi8ELi10EEEENSS_IJLi11EEEENSS_IJLi12EEEENSS_IJLi14EEEENSS_IJLi13EEEEEEENS5_IJNSS_IJLi1ELi2ELi3EEEESX_SY_SZ_NSS_IJLi7EEEENSS_IJLi8ELi9EEEENSS_IJLi10EEEES12_S13_S15_S14_NSS_IJLi15ELi16EEEENSS_IJLi17EEEEEEENSS_IJLi15ELi17ELi16EEEElEENSB_INS5_IJSQ_SO_SO_SQ_SG_EEENS5_IJST_SU_SV_SX_SW_EEENS5_IJNSS_IJLi1ELi2EEEESW_SX_NSS_IJLi5ELi6EEEES18_EEENSS_IJLi5ELi7ELi6EEEElEENSB_INS5_IJSK_SO_SO_EEENS5_IJST_SU_SV_EEENS5_IJS1I_SW_SX_EEENSS_IJLi3ELi4EEEElEELi128ELi128ELi16ELi4ELi4ELi4ELi1ENSS_IJLi8ELi2EEEES1S_NSS_IJLi8ELi1ELi1ELi4EEEENSS_IJLi2ELi1ELi128ELi1EEEENSS_IJLi1ELi2ELi0ELi3EEEES1V_NSS_IJLi4ELi1ELi1ELi4EEEES1V_NSS_IJLi1ELi1ELi1ELi4EEEES1T_S1U_S1V_S1V_S1W_S1V_S1X_NSS_IJLi0ELi1ELi2ELi3ELi4ELi5EEEELi5ELi4EEEaNS5_IJPKaEEEaS8_S8_S9_NSB_INS5_IJSE_SG_SI_SG_SG_SK_SG_SM_SM_SO_SO_SQ_SG_SG_NSP_INS5_IJiNS_17integral_constantIiLi128EEEEEELb0EEENSF_INS23_IiLi4EEEEEEEENS5_IJST_SU_SV_SW_SX_SY_SZ_S10_S11_S12_S13_S14_S15_NSS_IJLi15EEEES1C_NSS_IJLi16EEEEEEENS5_IJS17_SX_SY_SZ_S18_S19_S1A_S12_S13_S15_S14_S1B_S1C_NSS_IJLi18EEEENSS_IJLi19ELi20EEEENSS_IJLi21EEEEEEENSS_IJLi18ELi19ELi20ELi21EEEElEENSB_INS5_IJSQ_SO_SO_SQ_SG_SG_S26_S28_EEENS5_IJST_SU_SV_SX_SW_SY_S18_SZ_EEENS5_IJS1I_SW_SX_S1J_S18_NSS_IJLi8EEEENSS_IJLi9ELi10EEEES12_EEENSS_IJLi8ELi9ELi10ELi11EEEElEENS5_IJNSB_INS5_IJSK_SO_SO_NSP_INS5_IJiNS23_IiLi2EEENS23_IiLi64EEEEEELb0EEES2T_EEENS5_IJST_SU_SV_SW_SX_EEENS5_IJS1I_SW_SX_NSS_IJLi5ELi6ELi7EEEENSS_IJLi8ELi9ELi10EEEEEEENSS_IJLi5ELi6ELi7ELi8ELi9ELi10EEEElEEEEES30_NS_31BlockToCTileMap_M00_N00_M01_N01ILi128ELi128ES1R_Lb0EEENS1_30ComputePtrOffsetOfStridedBatchILi1ELi1ELi1EvEELb1ELb0EEEvPKT0_S38_T1_PT2_T3_T4_T5_iT6_T7_T8_T9_T10_T11_ ; -- Begin function _ZN2ck16tensor_operation6device12_GLOBAL__N_137kernel_grouped_conv_fwd_dl_multiple_dINS_32GridwiseGemmDlMultipleD_km_kn_mnILi256EaiNS_5TupleIJaEEEaNS0_12element_wise11PassThroughES8_NS7_7AddReluELNS_25InMemoryDataOperationEnumE0ENS_16TensorDescriptorINS5_IJNS_5EmbedINS5_IJiiiEEESD_Lb0EEENS_11PassThroughIiEENS_3PadIiiiLb0EEESG_SG_NSC_INS5_IJiiEEESJ_Lb0EEESG_NS_23Merge_v2_magic_divisionISJ_EESM_NS_8RightPadIiiLb0EEESO_NS_7UnMergeISJ_Lb0EEESG_EEENS5_IJNS_8SequenceIJLi0EEEENSS_IJLi1EEEENSS_IJLi2EEEENSS_IJLi3EEEENSS_IJLi4EEEENSS_IJLi5EEEENSS_IJLi6EEEENSS_IJLi7ELi9EEEENSS_IJLi8ELi10EEEENSS_IJLi11EEEENSS_IJLi12EEEENSS_IJLi14EEEENSS_IJLi13EEEEEEENS5_IJNSS_IJLi1ELi2ELi3EEEESX_SY_SZ_NSS_IJLi7EEEENSS_IJLi8ELi9EEEENSS_IJLi10EEEES12_S13_S15_S14_NSS_IJLi15ELi16EEEENSS_IJLi17EEEEEEENSS_IJLi15ELi17ELi16EEEElEENSB_INS5_IJSQ_SO_SO_SQ_SG_EEENS5_IJST_SU_SV_SX_SW_EEENS5_IJNSS_IJLi1ELi2EEEESW_SX_NSS_IJLi5ELi6EEEES18_EEENSS_IJLi5ELi7ELi6EEEElEENSB_INS5_IJSK_SO_SO_EEENS5_IJST_SU_SV_EEENS5_IJS1I_SW_SX_EEENSS_IJLi3ELi4EEEElEELi128ELi128ELi16ELi4ELi4ELi4ELi1ENSS_IJLi8ELi2EEEES1S_NSS_IJLi8ELi1ELi1ELi4EEEENSS_IJLi2ELi1ELi128ELi1EEEENSS_IJLi1ELi2ELi0ELi3EEEES1V_NSS_IJLi4ELi1ELi1ELi4EEEES1V_NSS_IJLi1ELi1ELi1ELi4EEEES1T_S1U_S1V_S1V_S1W_S1V_S1X_NSS_IJLi0ELi1ELi2ELi3ELi4ELi5EEEELi5ELi4EEEaNS5_IJPKaEEEaS8_S8_S9_NSB_INS5_IJSE_SG_SI_SG_SG_SK_SG_SM_SM_SO_SO_SQ_SG_SG_NSP_INS5_IJiNS_17integral_constantIiLi128EEEEEELb0EEENSF_INS23_IiLi4EEEEEEEENS5_IJST_SU_SV_SW_SX_SY_SZ_S10_S11_S12_S13_S14_S15_NSS_IJLi15EEEES1C_NSS_IJLi16EEEEEEENS5_IJS17_SX_SY_SZ_S18_S19_S1A_S12_S13_S15_S14_S1B_S1C_NSS_IJLi18EEEENSS_IJLi19ELi20EEEENSS_IJLi21EEEEEEENSS_IJLi18ELi19ELi20ELi21EEEElEENSB_INS5_IJSQ_SO_SO_SQ_SG_SG_S26_S28_EEENS5_IJST_SU_SV_SX_SW_SY_S18_SZ_EEENS5_IJS1I_SW_SX_S1J_S18_NSS_IJLi8EEEENSS_IJLi9ELi10EEEES12_EEENSS_IJLi8ELi9ELi10ELi11EEEElEENS5_IJNSB_INS5_IJSK_SO_SO_NSP_INS5_IJiNS23_IiLi2EEENS23_IiLi64EEEEEELb0EEES2T_EEENS5_IJST_SU_SV_SW_SX_EEENS5_IJS1I_SW_SX_NSS_IJLi5ELi6ELi7EEEENSS_IJLi8ELi9ELi10EEEEEEENSS_IJLi5ELi6ELi7ELi8ELi9ELi10EEEElEEEEES30_NS_31BlockToCTileMap_M00_N00_M01_N01ILi128ELi128ES1R_Lb0EEENS1_30ComputePtrOffsetOfStridedBatchILi1ELi1ELi1EvEELb1ELb0EEEvPKT0_S38_T1_PT2_T3_T4_T5_iT6_T7_T8_T9_T10_T11_
	.p2align	8
	.type	_ZN2ck16tensor_operation6device12_GLOBAL__N_137kernel_grouped_conv_fwd_dl_multiple_dINS_32GridwiseGemmDlMultipleD_km_kn_mnILi256EaiNS_5TupleIJaEEEaNS0_12element_wise11PassThroughES8_NS7_7AddReluELNS_25InMemoryDataOperationEnumE0ENS_16TensorDescriptorINS5_IJNS_5EmbedINS5_IJiiiEEESD_Lb0EEENS_11PassThroughIiEENS_3PadIiiiLb0EEESG_SG_NSC_INS5_IJiiEEESJ_Lb0EEESG_NS_23Merge_v2_magic_divisionISJ_EESM_NS_8RightPadIiiLb0EEESO_NS_7UnMergeISJ_Lb0EEESG_EEENS5_IJNS_8SequenceIJLi0EEEENSS_IJLi1EEEENSS_IJLi2EEEENSS_IJLi3EEEENSS_IJLi4EEEENSS_IJLi5EEEENSS_IJLi6EEEENSS_IJLi7ELi9EEEENSS_IJLi8ELi10EEEENSS_IJLi11EEEENSS_IJLi12EEEENSS_IJLi14EEEENSS_IJLi13EEEEEEENS5_IJNSS_IJLi1ELi2ELi3EEEESX_SY_SZ_NSS_IJLi7EEEENSS_IJLi8ELi9EEEENSS_IJLi10EEEES12_S13_S15_S14_NSS_IJLi15ELi16EEEENSS_IJLi17EEEEEEENSS_IJLi15ELi17ELi16EEEElEENSB_INS5_IJSQ_SO_SO_SQ_SG_EEENS5_IJST_SU_SV_SX_SW_EEENS5_IJNSS_IJLi1ELi2EEEESW_SX_NSS_IJLi5ELi6EEEES18_EEENSS_IJLi5ELi7ELi6EEEElEENSB_INS5_IJSK_SO_SO_EEENS5_IJST_SU_SV_EEENS5_IJS1I_SW_SX_EEENSS_IJLi3ELi4EEEElEELi128ELi128ELi16ELi4ELi4ELi4ELi1ENSS_IJLi8ELi2EEEES1S_NSS_IJLi8ELi1ELi1ELi4EEEENSS_IJLi2ELi1ELi128ELi1EEEENSS_IJLi1ELi2ELi0ELi3EEEES1V_NSS_IJLi4ELi1ELi1ELi4EEEES1V_NSS_IJLi1ELi1ELi1ELi4EEEES1T_S1U_S1V_S1V_S1W_S1V_S1X_NSS_IJLi0ELi1ELi2ELi3ELi4ELi5EEEELi5ELi4EEEaNS5_IJPKaEEEaS8_S8_S9_NSB_INS5_IJSE_SG_SI_SG_SG_SK_SG_SM_SM_SO_SO_SQ_SG_SG_NSP_INS5_IJiNS_17integral_constantIiLi128EEEEEELb0EEENSF_INS23_IiLi4EEEEEEEENS5_IJST_SU_SV_SW_SX_SY_SZ_S10_S11_S12_S13_S14_S15_NSS_IJLi15EEEES1C_NSS_IJLi16EEEEEEENS5_IJS17_SX_SY_SZ_S18_S19_S1A_S12_S13_S15_S14_S1B_S1C_NSS_IJLi18EEEENSS_IJLi19ELi20EEEENSS_IJLi21EEEEEEENSS_IJLi18ELi19ELi20ELi21EEEElEENSB_INS5_IJSQ_SO_SO_SQ_SG_SG_S26_S28_EEENS5_IJST_SU_SV_SX_SW_SY_S18_SZ_EEENS5_IJS1I_SW_SX_S1J_S18_NSS_IJLi8EEEENSS_IJLi9ELi10EEEES12_EEENSS_IJLi8ELi9ELi10ELi11EEEElEENS5_IJNSB_INS5_IJSK_SO_SO_NSP_INS5_IJiNS23_IiLi2EEENS23_IiLi64EEEEEELb0EEES2T_EEENS5_IJST_SU_SV_SW_SX_EEENS5_IJS1I_SW_SX_NSS_IJLi5ELi6ELi7EEEENSS_IJLi8ELi9ELi10EEEEEEENSS_IJLi5ELi6ELi7ELi8ELi9ELi10EEEElEEEEES30_NS_31BlockToCTileMap_M00_N00_M01_N01ILi128ELi128ES1R_Lb0EEENS1_30ComputePtrOffsetOfStridedBatchILi1ELi1ELi1EvEELb1ELb0EEEvPKT0_S38_T1_PT2_T3_T4_T5_iT6_T7_T8_T9_T10_T11_,@function
_ZN2ck16tensor_operation6device12_GLOBAL__N_137kernel_grouped_conv_fwd_dl_multiple_dINS_32GridwiseGemmDlMultipleD_km_kn_mnILi256EaiNS_5TupleIJaEEEaNS0_12element_wise11PassThroughES8_NS7_7AddReluELNS_25InMemoryDataOperationEnumE0ENS_16TensorDescriptorINS5_IJNS_5EmbedINS5_IJiiiEEESD_Lb0EEENS_11PassThroughIiEENS_3PadIiiiLb0EEESG_SG_NSC_INS5_IJiiEEESJ_Lb0EEESG_NS_23Merge_v2_magic_divisionISJ_EESM_NS_8RightPadIiiLb0EEESO_NS_7UnMergeISJ_Lb0EEESG_EEENS5_IJNS_8SequenceIJLi0EEEENSS_IJLi1EEEENSS_IJLi2EEEENSS_IJLi3EEEENSS_IJLi4EEEENSS_IJLi5EEEENSS_IJLi6EEEENSS_IJLi7ELi9EEEENSS_IJLi8ELi10EEEENSS_IJLi11EEEENSS_IJLi12EEEENSS_IJLi14EEEENSS_IJLi13EEEEEEENS5_IJNSS_IJLi1ELi2ELi3EEEESX_SY_SZ_NSS_IJLi7EEEENSS_IJLi8ELi9EEEENSS_IJLi10EEEES12_S13_S15_S14_NSS_IJLi15ELi16EEEENSS_IJLi17EEEEEEENSS_IJLi15ELi17ELi16EEEElEENSB_INS5_IJSQ_SO_SO_SQ_SG_EEENS5_IJST_SU_SV_SX_SW_EEENS5_IJNSS_IJLi1ELi2EEEESW_SX_NSS_IJLi5ELi6EEEES18_EEENSS_IJLi5ELi7ELi6EEEElEENSB_INS5_IJSK_SO_SO_EEENS5_IJST_SU_SV_EEENS5_IJS1I_SW_SX_EEENSS_IJLi3ELi4EEEElEELi128ELi128ELi16ELi4ELi4ELi4ELi1ENSS_IJLi8ELi2EEEES1S_NSS_IJLi8ELi1ELi1ELi4EEEENSS_IJLi2ELi1ELi128ELi1EEEENSS_IJLi1ELi2ELi0ELi3EEEES1V_NSS_IJLi4ELi1ELi1ELi4EEEES1V_NSS_IJLi1ELi1ELi1ELi4EEEES1T_S1U_S1V_S1V_S1W_S1V_S1X_NSS_IJLi0ELi1ELi2ELi3ELi4ELi5EEEELi5ELi4EEEaNS5_IJPKaEEEaS8_S8_S9_NSB_INS5_IJSE_SG_SI_SG_SG_SK_SG_SM_SM_SO_SO_SQ_SG_SG_NSP_INS5_IJiNS_17integral_constantIiLi128EEEEEELb0EEENSF_INS23_IiLi4EEEEEEEENS5_IJST_SU_SV_SW_SX_SY_SZ_S10_S11_S12_S13_S14_S15_NSS_IJLi15EEEES1C_NSS_IJLi16EEEEEEENS5_IJS17_SX_SY_SZ_S18_S19_S1A_S12_S13_S15_S14_S1B_S1C_NSS_IJLi18EEEENSS_IJLi19ELi20EEEENSS_IJLi21EEEEEEENSS_IJLi18ELi19ELi20ELi21EEEElEENSB_INS5_IJSQ_SO_SO_SQ_SG_SG_S26_S28_EEENS5_IJST_SU_SV_SX_SW_SY_S18_SZ_EEENS5_IJS1I_SW_SX_S1J_S18_NSS_IJLi8EEEENSS_IJLi9ELi10EEEES12_EEENSS_IJLi8ELi9ELi10ELi11EEEElEENS5_IJNSB_INS5_IJSK_SO_SO_NSP_INS5_IJiNS23_IiLi2EEENS23_IiLi64EEEEEELb0EEES2T_EEENS5_IJST_SU_SV_SW_SX_EEENS5_IJS1I_SW_SX_NSS_IJLi5ELi6ELi7EEEENSS_IJLi8ELi9ELi10EEEEEEENSS_IJLi5ELi6ELi7ELi8ELi9ELi10EEEElEEEEES30_NS_31BlockToCTileMap_M00_N00_M01_N01ILi128ELi128ES1R_Lb0EEENS1_30ComputePtrOffsetOfStridedBatchILi1ELi1ELi1EvEELb1ELb0EEEvPKT0_S38_T1_PT2_T3_T4_T5_iT6_T7_T8_T9_T10_T11_: ; @_ZN2ck16tensor_operation6device12_GLOBAL__N_137kernel_grouped_conv_fwd_dl_multiple_dINS_32GridwiseGemmDlMultipleD_km_kn_mnILi256EaiNS_5TupleIJaEEEaNS0_12element_wise11PassThroughES8_NS7_7AddReluELNS_25InMemoryDataOperationEnumE0ENS_16TensorDescriptorINS5_IJNS_5EmbedINS5_IJiiiEEESD_Lb0EEENS_11PassThroughIiEENS_3PadIiiiLb0EEESG_SG_NSC_INS5_IJiiEEESJ_Lb0EEESG_NS_23Merge_v2_magic_divisionISJ_EESM_NS_8RightPadIiiLb0EEESO_NS_7UnMergeISJ_Lb0EEESG_EEENS5_IJNS_8SequenceIJLi0EEEENSS_IJLi1EEEENSS_IJLi2EEEENSS_IJLi3EEEENSS_IJLi4EEEENSS_IJLi5EEEENSS_IJLi6EEEENSS_IJLi7ELi9EEEENSS_IJLi8ELi10EEEENSS_IJLi11EEEENSS_IJLi12EEEENSS_IJLi14EEEENSS_IJLi13EEEEEEENS5_IJNSS_IJLi1ELi2ELi3EEEESX_SY_SZ_NSS_IJLi7EEEENSS_IJLi8ELi9EEEENSS_IJLi10EEEES12_S13_S15_S14_NSS_IJLi15ELi16EEEENSS_IJLi17EEEEEEENSS_IJLi15ELi17ELi16EEEElEENSB_INS5_IJSQ_SO_SO_SQ_SG_EEENS5_IJST_SU_SV_SX_SW_EEENS5_IJNSS_IJLi1ELi2EEEESW_SX_NSS_IJLi5ELi6EEEES18_EEENSS_IJLi5ELi7ELi6EEEElEENSB_INS5_IJSK_SO_SO_EEENS5_IJST_SU_SV_EEENS5_IJS1I_SW_SX_EEENSS_IJLi3ELi4EEEElEELi128ELi128ELi16ELi4ELi4ELi4ELi1ENSS_IJLi8ELi2EEEES1S_NSS_IJLi8ELi1ELi1ELi4EEEENSS_IJLi2ELi1ELi128ELi1EEEENSS_IJLi1ELi2ELi0ELi3EEEES1V_NSS_IJLi4ELi1ELi1ELi4EEEES1V_NSS_IJLi1ELi1ELi1ELi4EEEES1T_S1U_S1V_S1V_S1W_S1V_S1X_NSS_IJLi0ELi1ELi2ELi3ELi4ELi5EEEELi5ELi4EEEaNS5_IJPKaEEEaS8_S8_S9_NSB_INS5_IJSE_SG_SI_SG_SG_SK_SG_SM_SM_SO_SO_SQ_SG_SG_NSP_INS5_IJiNS_17integral_constantIiLi128EEEEEELb0EEENSF_INS23_IiLi4EEEEEEEENS5_IJST_SU_SV_SW_SX_SY_SZ_S10_S11_S12_S13_S14_S15_NSS_IJLi15EEEES1C_NSS_IJLi16EEEEEEENS5_IJS17_SX_SY_SZ_S18_S19_S1A_S12_S13_S15_S14_S1B_S1C_NSS_IJLi18EEEENSS_IJLi19ELi20EEEENSS_IJLi21EEEEEEENSS_IJLi18ELi19ELi20ELi21EEEElEENSB_INS5_IJSQ_SO_SO_SQ_SG_SG_S26_S28_EEENS5_IJST_SU_SV_SX_SW_SY_S18_SZ_EEENS5_IJS1I_SW_SX_S1J_S18_NSS_IJLi8EEEENSS_IJLi9ELi10EEEES12_EEENSS_IJLi8ELi9ELi10ELi11EEEElEENS5_IJNSB_INS5_IJSK_SO_SO_NSP_INS5_IJiNS23_IiLi2EEENS23_IiLi64EEEEEELb0EEES2T_EEENS5_IJST_SU_SV_SW_SX_EEENS5_IJS1I_SW_SX_NSS_IJLi5ELi6ELi7EEEENSS_IJLi8ELi9ELi10EEEEEEENSS_IJLi5ELi6ELi7ELi8ELi9ELi10EEEElEEEEES30_NS_31BlockToCTileMap_M00_N00_M01_N01ILi128ELi128ES1R_Lb0EEENS1_30ComputePtrOffsetOfStridedBatchILi1ELi1ELi1EvEELb1ELb0EEEvPKT0_S38_T1_PT2_T3_T4_T5_iT6_T7_T8_T9_T10_T11_
; %bb.0:
	s_add_u32 flat_scratch_lo, s6, s9
	s_addc_u32 flat_scratch_hi, s7, 0
	s_add_u32 s0, s0, s9
	s_addc_u32 s1, s1, 0
	s_mov_b64 s[6:7], s[4:5]
	s_load_dwordx4 s[12:15], s[4:5], 0x0
	s_load_dwordx2 s[58:59], s[4:5], 0x18
	s_load_dword s16, s[4:5], 0x24
	s_load_dwordx8 s[24:31], s[4:5], 0x34
	s_load_dwordx2 s[60:61], s[4:5], 0x60
	s_load_dword s9, s[4:5], 0x70
	s_load_dword s11, s[4:5], 0x78
	;; [unrolled: 1-line block ×6, first 2 shown]
	s_nop 0
	s_load_dword s4, s[4:5], 0xa8
	s_waitcnt lgkmcnt(0)
	s_abs_i32 s17, s16
	v_cvt_f32_u32_e32 v1, s17
	s_load_dword s31, s[6:7], 0xc4
	s_load_dword s83, s[6:7], 0xd0
	;; [unrolled: 1-line block ×8, first 2 shown]
	s_sub_i32 s19, 0, s17
	s_load_dword s50, s[6:7], 0x148
	s_load_dwordx2 s[56:57], s[6:7], 0x158
	s_load_dword s27, s[6:7], 0x164
	s_load_dword s62, s[6:7], 0x170
	v_rcp_iflag_f32_e32 v1, v1
	s_load_dword s35, s[6:7], 0x204
	s_load_dword s47, s[6:7], 0x214
	s_load_dwordx4 s[36:39], s[6:7], 0x220
	s_waitcnt lgkmcnt(0)
	s_xor_b32 s16, s18, s16
	s_abs_i32 s18, s18
	v_mul_f32_e32 v1, 0x4f7ffffe, v1
	v_cvt_u32_f32_e32 v1, v1
	s_ashr_i32 s16, s16, 31
	v_lshrrev_b32_e32 v18, 1, v0
	v_mov_b32_e32 v39, 0
	v_readfirstlane_b32 s20, v1
	s_mul_i32 s19, s19, s20
	s_mul_hi_u32 s19, s20, s19
	s_add_i32 s20, s20, s19
	s_mul_hi_u32 s19, s18, s20
	s_mul_i32 s20, s19, s17
	s_sub_i32 s18, s18, s20
	s_add_i32 s20, s19, 1
	s_sub_i32 s21, s18, s17
	s_cmp_ge_u32 s18, s17
	s_cselect_b32 s19, s20, s19
	s_cselect_b32 s18, s21, s18
	s_add_i32 s20, s19, 1
	s_cmp_ge_u32 s18, s17
	s_cselect_b32 s17, s20, s19
	s_xor_b32 s17, s17, s16
	s_sub_i32 s33, s17, s16
	s_abs_i32 s34, s33
	v_cvt_f32_u32_e32 v1, s34
	s_sub_i32 s45, 0, s34
	s_abs_i32 s44, s8
	s_xor_b32 s33, s8, s33
	v_rcp_iflag_f32_e32 v1, v1
	s_ashr_i32 s33, s33, 31
	s_load_dwordx4 s[52:55], s[6:7], 0x234
	s_load_dwordx4 s[40:43], s[6:7], 0x248
	s_load_dwordx8 s[16:23], s[6:7], 0x260
	s_mov_b32 s73, 0
	v_mul_f32_e32 v1, 0x4f7ffffe, v1
	v_cvt_u32_f32_e32 v1, v1
	s_mov_b32 s70, 64
	s_movk_i32 s71, 0x190
	s_movk_i32 s74, 0x1b0
	v_readfirstlane_b32 s48, v1
	s_mul_i32 s45, s45, s48
	s_mul_hi_u32 s45, s48, s45
	s_add_i32 s48, s48, s45
	s_mul_hi_u32 s45, s44, s48
	s_mul_i32 s48, s45, s34
	s_sub_i32 s44, s44, s48
	s_add_i32 s48, s45, 1
	s_sub_i32 s49, s44, s34
	s_cmp_ge_u32 s44, s34
	s_cselect_b32 s45, s48, s45
	s_cselect_b32 s44, s49, s44
	s_add_i32 s48, s45, 1
	s_cmp_ge_u32 s44, s34
	s_cselect_b32 s34, s48, s45
	s_xor_b32 s34, s34, s33
	s_sub_i32 s63, s34, s33
	s_ashr_i32 s64, s63, 31
	s_waitcnt lgkmcnt(0)
	s_mul_i32 s33, s16, s64
	s_mul_hi_u32 s34, s16, s63
	s_add_i32 s33, s34, s33
	s_mul_i32 s17, s17, s63
	s_add_i32 s33, s33, s17
	s_mul_i32 s17, s18, s64
	s_mul_hi_u32 s34, s18, s63
	s_add_i32 s17, s34, s17
	s_mul_i32 s19, s19, s63
	s_add_i32 s17, s17, s19
	s_mul_i32 s19, s22, s64
	s_mul_hi_u32 s34, s22, s63
	s_add_i32 s19, s34, s19
	s_mul_i32 s23, s23, s63
	s_mul_i32 s16, s16, s63
	s_add_i32 s65, s19, s23
	s_add_u32 s44, s12, s16
	s_mul_i32 s18, s18, s63
	s_addc_u32 s45, s13, s33
	s_add_u32 s48, s14, s18
	s_mul_hi_u32 s12, s55, s8
	s_addc_u32 s49, s15, s17
	s_add_i32 s12, s8, s12
	s_lshr_b32 s12, s12, s43
	s_mul_i32 s13, s12, s39
	s_sub_i32 s55, s8, s13
	s_mul_hi_u32 s8, s12, s54
	s_add_i32 s8, s12, s8
	s_lshr_b32 s8, s8, s42
	s_mul_i32 s13, s8, s38
	s_sub_i32 s54, s12, s13
	s_mul_hi_u32 s12, s8, s53
	;; [unrolled: 5-line block ×3, first 2 shown]
	s_add_i32 s13, s12, s13
	v_lshlrev_b32_e32 v1, 3, v0
	s_lshr_b32 s13, s13, s40
	v_and_b32_e32 v19, 8, v1
	s_mul_i32 s13, s13, s36
	v_mul_lo_u32 v21, s31, v19
	s_sub_i32 s12, s12, s13
	v_mul_hi_u32 v1, v21, s67
	s_mul_i32 s12, s12, s35
	v_add_u32_e32 v1, v21, v1
	s_add_i32 s54, s54, s12
	v_lshrrev_b32_e32 v4, s68, v1
	v_lshl_or_b32 v20, s54, 7, v18
	v_mul_lo_u32 v1, v4, s66
	v_sub_u32_e32 v5, v21, v1
	v_mul_hi_u32 v1, v20, s11
	v_add_u32_e32 v1, v20, v1
	v_lshrrev_b32_e32 v1, s10, v1
	v_mul_lo_u32 v2, v1, s9
	v_sub_u32_e32 v3, v20, v2
	v_mul_lo_u32 v2, v4, s60
	s_mul_i32 s13, s8, s47
	v_mad_u64_u32 v[16:17], s[8:9], v3, s61, v[2:3]
	v_subrev_u32_e32 v2, s29, v16
	v_mul_lo_u32 v1, v1, s24
	v_mul_lo_u32 v2, v2, s25
	;; [unrolled: 1-line block ×3, first 2 shown]
	v_add3_u32 v6, v1, v3, v2
	v_lshrrev_b32_e32 v1, 5, v0
	v_lshlrev_b32_e32 v3, 1, v0
	v_lshlrev_b32_e32 v2, 6, v1
	v_and_b32_e32 v7, 0x1f8, v3
	v_sub_u32_e32 v2, v7, v2
	v_lshlrev_b32_e32 v0, 2, v0
	v_and_or_b32 v35, v0, 4, v2
	v_and_b32_e32 v0, 0x1fc, v3
	v_sub_u32_e32 v0, v0, v7
	v_lshl_add_u32 v38, v1, 3, v0
	s_lshl_b32 s87, s31, 2
	v_lshlrev_b32_e32 v0, 2, v38
	v_add_u32_e32 v40, s87, v21
	buffer_store_dword v39, off, s[0:3], 0 offset:64
	buffer_store_dword v38, off, s[0:3], 0 offset:68
	;; [unrolled: 1-line block ×12, first 2 shown]
	v_lshlrev_b32_e32 v0, 2, v35
	s_mov_b64 s[8:9], src_shared_base
	v_mul_hi_u32 v7, v40, s67
	buffer_store_dword v0, off, s[0:3], 0 offset:112
	buffer_store_dword v39, off, s[0:3], 0 offset:116
	;; [unrolled: 1-line block ×72, first 2 shown]
	v_mov_b32_e32 v0, s9
	v_mov_b32_e32 v1, 0x4000
	v_add_u32_e32 v7, v40, v7
	buffer_store_dword v0, off, s[0:3], 0 offset:404
	buffer_store_dword v39, off, s[0:3], 0 offset:400
	buffer_store_byte v39, off, s[0:3], 0 offset:409
	buffer_store_dword v0, off, s[0:3], 0 offset:420
	buffer_store_dword v1, off, s[0:3], 0 offset:416
	buffer_store_byte v39, off, s[0:3], 0 offset:425
	buffer_store_dword v0, off, s[0:3], 0 offset:436
	v_mov_b32_e32 v1, 0x2000
	v_lshrrev_b32_e32 v37, s68, v7
	buffer_store_dword v1, off, s[0:3], 0 offset:432
	buffer_store_byte v39, off, s[0:3], 0 offset:441
	buffer_store_dword v0, off, s[0:3], 0 offset:452
	v_mov_b32_e32 v0, 0x6000
	v_mul_lo_u32 v7, v37, s66
	buffer_store_dword v0, off, s[0:3], 0 offset:448
	buffer_store_byte v39, off, s[0:3], 0 offset:457
	s_mov_b32 s47, 0x20000
	v_sub_u32_e32 v55, v40, v7
	v_sub_u32_e32 v4, v37, v4
	buffer_load_dwordx4 v[0:3], v6, s[44:47], 0 offen
	v_sub_u32_e32 v5, v55, v5
	v_mul_lo_u32 v17, v4, s60
	v_mul_lo_u32 v4, v17, s25
	;; [unrolled: 1-line block ×3, first 2 shown]
	s_add_i32 s55, s55, s13
	v_add3_u32 v36, v5, v4, v6
	v_lshl_or_b32 v22, s55, 7, v18
	buffer_load_dwordx4 v[4:7], v36, s[44:47], 0 offen
	v_mul_lo_u32 v23, s85, v19
	v_mul_lo_u32 v41, v22, s5
	v_add_u32_e32 v12, v41, v23
	s_mov_b32 s51, s47
	buffer_load_dwordx4 v[8:11], v12, s[48:51], 0 offen
	s_lshl_b32 s12, s85, 2
	v_add_u32_e32 v12, s12, v12
	buffer_load_dwordx4 v[12:15], v12, s[48:51], 0 offen
	s_load_dword s37, s[6:7], 0xb4
	s_load_dwordx2 s[38:39], s[6:7], 0x1e8
	s_sub_i32 s28, s28, s30
	v_cmp_gt_i32_e64 s[8:9], s4, v20
	v_cmp_le_i32_e64 s[4:5], s29, v16
	v_cmp_gt_i32_e64 s[10:11], s28, v16
	s_waitcnt lgkmcnt(0)
	v_cmp_gt_i32_e32 vcc, s37, v21
	s_and_b64 s[4:5], s[4:5], s[10:11]
	s_and_b64 s[4:5], vcc, s[4:5]
	v_add_u32_e32 v54, v16, v17
	s_and_b64 vcc, s[8:9], s[4:5]
	v_cmp_le_i32_e64 s[4:5], s29, v54
	v_cmp_gt_i32_e64 s[10:11], s28, v54
	s_and_b64 s[4:5], s[4:5], s[10:11]
	v_lshlrev_b32_e32 v18, 2, v18
	v_cmp_gt_i32_e64 s[10:11], s78, v22
	s_mov_b32 s78, 0x3020104
	v_lshl_or_b32 v34, v19, 9, v18
	s_load_dwordx2 s[42:43], s[6:7], 0x198
	s_load_dwordx2 s[34:35], s[6:7], 0x1a8
	s_load_dword s24, s[6:7], 0x1b4
	s_load_dword s33, s[6:7], 0x1c0
	v_add_u32_e32 v16, s12, v23
	s_mul_i32 s36, s22, s63
	s_mov_b64 s[22:23], src_private_base
	s_mov_b32 s40, s25
	s_mov_b32 s41, s26
	s_movk_i32 s22, 0x90
	s_mov_b32 s39, s23
	s_mov_b32 s72, s23
	s_movk_i32 s61, 0x1a0
	s_waitcnt lgkmcnt(0)
	s_mov_b32 s43, s23
	s_mov_b32 s75, s23
	s_movk_i32 s76, 0x1c0
	s_mov_b32 s77, s23
	s_mov_b32 s79, 0
	;; [unrolled: 1-line block ×5, first 2 shown]
	s_sub_i32 s83, s83, 32
	s_lshl_b32 s84, s85, 5
	s_sub_i32 s86, 0, s66
	s_mov_b32 s88, 0
	s_mov_b32 s89, 0
	s_movk_i32 s32, 0x7800
	s_waitcnt vmcnt(3)
	v_cndmask_b32_e32 v3, 0, v3, vcc
	v_cndmask_b32_e32 v2, 0, v2, vcc
	;; [unrolled: 1-line block ×4, first 2 shown]
	v_cmp_gt_i32_e32 vcc, s37, v40
	s_and_b64 s[4:5], vcc, s[4:5]
	s_and_b64 vcc, s[8:9], s[4:5]
	v_perm_b32 v0, v0, v0, s78
	s_waitcnt vmcnt(2)
	v_cndmask_b32_e32 v7, 0, v7, vcc
	v_cndmask_b32_e32 v6, 0, v6, vcc
	;; [unrolled: 1-line block ×4, first 2 shown]
	v_cmp_gt_i32_e32 vcc, s69, v23
	ds_write2st64_b32 v34, v0, v1 offset1:2
	v_perm_b32 v0, v2, v2, s78
	s_and_b64 vcc, vcc, s[10:11]
	ds_write2st64_b32 v34, v0, v3 offset0:4 offset1:6
	v_perm_b32 v0, v4, v4, s78
	s_waitcnt vmcnt(1)
	v_cndmask_b32_e32 v11, 0, v11, vcc
	v_cndmask_b32_e32 v10, 0, v10, vcc
	v_cndmask_b32_e32 v9, 0, v9, vcc
	v_cndmask_b32_e32 v8, 0, v8, vcc
	v_cmp_gt_i32_e32 vcc, s69, v16
	ds_write2st64_b32 v34, v0, v5 offset0:8 offset1:10
	v_perm_b32 v0, v6, v6, s78
	s_and_b64 vcc, vcc, s[10:11]
	ds_write2st64_b32 v34, v0, v7 offset0:12 offset1:14
	v_perm_b32 v0, v8, v8, s78
	s_waitcnt vmcnt(0)
	v_cndmask_b32_e32 v12, 0, v12, vcc
	ds_write2st64_b32 v34, v0, v9 offset0:64 offset1:66
	v_perm_b32 v0, v10, v10, s78
	v_cndmask_b32_e32 v14, 0, v14, vcc
	v_cndmask_b32_e32 v13, 0, v13, vcc
	ds_write2st64_b32 v34, v0, v11 offset0:68 offset1:70
	v_perm_b32 v0, v12, v12, s78
	v_cndmask_b32_e32 v15, 0, v15, vcc
	ds_write2st64_b32 v34, v0, v13 offset0:72 offset1:74
	v_perm_b32 v0, v14, v14, s78
	ds_write2st64_b32 v34, v0, v15 offset0:76 offset1:78
	v_or_b32_e32 v0, 36, v19
	v_or_b32_e32 v1, 32, v19
	;; [unrolled: 1-line block ×4, first 2 shown]
	s_mul_i32 s4, s31, 12
	v_mul_lo_u32 v46, s31, v3
	v_mul_lo_u32 v47, s31, v2
	;; [unrolled: 1-line block ×8, first 2 shown]
	s_lshl_b32 s85, s31, 5
	s_add_i32 s87, s87, s4
	v_mov_b32_e32 v50, v49
	v_mov_b32_e32 v51, v48
	;; [unrolled: 1-line block ×4, first 2 shown]
	s_getpc_b64 s[52:53]
	s_add_u32 s52, s52, _ZNK2ck6detail15static_for_implINS_8SequenceIJLi1ELi2ELi3ELi4ELi5ELi6ELi7ELi8ELi9ELi10ELi11ELi12ELi13ELi14ELi15EEEEEclIZNKS_80BlockwiseGemmDl_A_BK0_BM_BK1_B_BK0_BN_BK1_C_BM0_BM1_BN0_BN1_pipeline_BM0_2_BN0_2ILi256EaaiKNS_16TensorDescriptorINS_5TupleIJNS_5EmbedINS8_IJNS_17integral_constantIiLi16EEENSA_IiLi128EEENSA_IiLi4EEEEEENS8_IJNSA_IiLi512EEESD_NSA_IiLi1EEEEEELb0EEEEEENS8_IJNS2_IJLi0EEEEEEENS8_IJNS2_IJLi1ELi2ELi3EEEEEEESM_NSA_IlLl8192EEEEESQ_Li4ELi4ELi1ENS2_IJLi8ELi2EEEESR_Li4ELi4ELb0EE3RunINS7_INS8_IJNS_7UnMergeINS8_IJNSA_IiLi2EEESD_SV_SD_EEELb0EEEEEESL_NS8_IJNS2_IJLi1ELi2ELi3ELi4EEEEEEESZ_NSA_IlLl64EEEEENS_13DynamicBufferILNS_16AddressSpaceEnumE2EaSO_Lb1ELNS_22AmdBufferCoherenceEnumE0EiEES16_NS_12StaticBufferILS14_4EiLi64ELb1EEEEEvRKT_RKT0_RKT1_RT2_EUlS19_E_EEvS19_@rel32@lo+4
	s_addc_u32 s53, s53, _ZNK2ck6detail15static_for_implINS_8SequenceIJLi1ELi2ELi3ELi4ELi5ELi6ELi7ELi8ELi9ELi10ELi11ELi12ELi13ELi14ELi15EEEEEclIZNKS_80BlockwiseGemmDl_A_BK0_BM_BK1_B_BK0_BN_BK1_C_BM0_BM1_BN0_BN1_pipeline_BM0_2_BN0_2ILi256EaaiKNS_16TensorDescriptorINS_5TupleIJNS_5EmbedINS8_IJNS_17integral_constantIiLi16EEENSA_IiLi128EEENSA_IiLi4EEEEEENS8_IJNSA_IiLi512EEESD_NSA_IiLi1EEEEEELb0EEEEEENS8_IJNS2_IJLi0EEEEEEENS8_IJNS2_IJLi1ELi2ELi3EEEEEEESM_NSA_IlLl8192EEEEESQ_Li4ELi4ELi1ENS2_IJLi8ELi2EEEESR_Li4ELi4ELb0EE3RunINS7_INS8_IJNS_7UnMergeINS8_IJNSA_IiLi2EEESD_SV_SD_EEELb0EEEEEESL_NS8_IJNS2_IJLi1ELi2ELi3ELi4EEEEEEESZ_NSA_IlLl64EEEEENS_13DynamicBufferILNS_16AddressSpaceEnumE2EaSO_Lb1ELNS_22AmdBufferCoherenceEnumE0EiEES16_NS_12StaticBufferILS14_4EiLi64ELb1EEEEEvRKT_RKT0_RKT1_RT2_EUlS19_E_EEvS19_@rel32@hi+12
.LBB3_1:                                ; =>This Inner Loop Header: Depth=1
	v_mul_hi_u32 v0, s67, v53
	v_add_u32_e32 v17, s73, v46
	v_add_u32_e32 v0, v17, v0
	v_lshrrev_b32_e32 v0, s68, v0
	v_mul_lo_u32 v2, s86, v0
	v_mul_hi_u32 v1, s67, v52
	v_add_u32_e32 v3, v17, v2
	v_sub_u32_e32 v2, v2, v55
	v_sub_u32_e32 v4, v0, v37
	v_add_u32_e32 v16, s73, v47
	v_add_u32_e32 v2, v17, v2
	v_mul_lo_u32 v32, v4, s60
	v_add_u32_e32 v1, v16, v1
	v_mul_lo_u32 v4, v32, s40
	v_mul_lo_u32 v2, v2, s41
	v_lshrrev_b32_e32 v56, s68, v1
	v_add3_u32 v2, v4, v36, v2
	v_mad_u64_u32 v[36:37], s[4:5], s86, v56, v[16:17]
	v_sub_u32_e32 v0, v56, v0
	v_sub_u32_e32 v1, v36, v3
	v_mul_lo_u32 v33, v0, s60
	v_add_u32_e32 v8, v45, v41
	v_mul_lo_u32 v0, v33, s25
	v_mul_lo_u32 v1, v1, s26
	v_add_u32_e32 v9, v44, v41
	v_add3_u32 v55, v2, v0, v1
	buffer_load_dwordx4 v[0:3], v2, s[44:47], 0 offen
	s_nop 0
	buffer_load_dwordx4 v[4:7], v55, s[44:47], 0 offen
	buffer_load_dwordx4 v[12:15], v8, s[48:51], 0 offen
	s_nop 0
	buffer_load_dwordx4 v[8:11], v9, s[48:51], 0 offen
	s_waitcnt lgkmcnt(0)
	s_barrier
	buffer_load_dword v18, off, s[0:3], 0 offset:80
	buffer_load_dword v19, off, s[0:3], 0 offset:400
	;; [unrolled: 1-line block ×3, first 2 shown]
	s_nop 0
	buffer_store_dword v39, off, s[0:3], 0
	buffer_store_dword v39, off, s[0:3], 0 offset:4
	buffer_store_dword v39, off, s[0:3], 0 offset:8
	;; [unrolled: 1-line block ×15, first 2 shown]
	buffer_load_dword v22, off, s[0:3], 0 offset:112
	buffer_load_dword v23, off, s[0:3], 0 offset:416
	;; [unrolled: 1-line block ×13, first 2 shown]
	v_cmp_gt_i32_e64 s[4:5], s37, v16
	v_add_u32_e32 v16, v32, v54
	v_add_u32_e32 v90, s88, v45
	v_cmp_le_i32_e64 s[16:17], s29, v16
	v_cmp_gt_i32_e64 s[18:19], s28, v16
	v_cmp_gt_i32_e64 s[12:13], s69, v90
	s_and_b64 s[30:31], s[16:17], s[18:19]
	v_add_u32_e32 v91, s88, v44
	v_cmp_gt_i32_e64 s[14:15], s69, v91
	v_add_u32_e32 v54, v33, v16
	v_cmp_le_i32_e64 s[16:17], s29, v54
	v_cmp_gt_i32_e64 s[18:19], s28, v54
	s_and_b64 s[16:17], s[16:17], s[18:19]
	s_and_b64 s[4:5], s[4:5], s[16:17]
	v_mul_hi_u32 v88, s67, v51
	v_mul_hi_u32 v89, s67, v50
	s_waitcnt vmcnt(0)
	v_ashrrev_i32_e32 v25, 31, v22
	v_ashrrev_i32_e32 v21, 31, v18
	v_add_co_u32_e32 v30, vcc, v19, v18
	v_addc_co_u32_e32 v31, vcc, v20, v21, vcc
	flat_load_dwordx4 v[18:21], v[30:31]
	s_waitcnt vmcnt(0)
	v_add_co_u32_e32 v26, vcc, v23, v22
	buffer_load_dword v66, off, s[0:3], 0 offset:212
	buffer_load_dword v67, off, s[0:3], 0 offset:192
	;; [unrolled: 1-line block ×6, first 2 shown]
	v_addc_co_u32_e32 v27, vcc, v24, v25, vcc
	v_cmp_gt_i32_e32 vcc, s37, v17
	s_and_b64 s[30:31], vcc, s[30:31]
	s_and_b64 vcc, s[10:11], s[12:13]
	v_cndmask_b32_e32 v90, 0, v15, vcc
	v_cndmask_b32_e32 v91, 0, v14, vcc
	v_cndmask_b32_e32 v92, 0, v13, vcc
	v_cndmask_b32_e32 v93, 0, v12, vcc
	s_and_b64 vcc, s[10:11], s[14:15]
	v_cndmask_b32_e32 v94, 0, v11, vcc
	v_cndmask_b32_e32 v95, 0, v10, vcc
	v_cndmask_b32_e32 v96, 0, v9, vcc
	v_cndmask_b32_e32 v97, 0, v8, vcc
	;; [unrolled: 5-line block ×4, first 2 shown]
	v_mov_b32_e32 v0, s70
	v_mov_b32_e32 v1, s23
	v_mov_b32_e32 v2, s71
	v_mov_b32_e32 v3, s72
	v_mov_b32_e32 v4, s79
	v_mov_b32_e32 v5, s80
	v_mov_b32_e32 v6, s81
	v_mov_b32_e32 v7, s82
	v_mov_b32_e32 v8, s22
	v_mov_b32_e32 v9, s39
	v_mov_b32_e32 v10, s61
	v_mov_b32_e32 v11, s43
	s_waitcnt lgkmcnt(0)
	buffer_store_dword v18, off, s[0:3], 0
	buffer_store_dword v19, off, s[0:3], 0 offset:4
	buffer_store_dword v20, off, s[0:3], 0 offset:8
	;; [unrolled: 1-line block ×3, first 2 shown]
	flat_load_dwordx4 v[22:25], v[26:27]
	s_waitcnt vmcnt(0) lgkmcnt(0)
	buffer_store_dword v22, off, s[0:3], 0 offset:32
	buffer_store_dword v23, off, s[0:3], 0 offset:36
	;; [unrolled: 1-line block ×4, first 2 shown]
	flat_load_dwordx4 v[26:29], v[26:27] offset:256
	s_nop 0
	buffer_load_dword v72, off, s[0:3], 0 offset:176
	buffer_load_dword v73, off, s[0:3], 0 offset:208
	;; [unrolled: 1-line block ×16, first 2 shown]
	v_dot4c_i32_i8_e32 v59, v18, v22
	v_dot4c_i32_i8_e32 v37, v18, v23
	;; [unrolled: 1-line block ×8, first 2 shown]
	s_waitcnt vmcnt(0) lgkmcnt(0)
	buffer_store_dword v26, off, s[0:3], 0 offset:48
	buffer_store_dword v27, off, s[0:3], 0 offset:52
	;; [unrolled: 1-line block ×4, first 2 shown]
	flat_load_dwordx4 v[12:15], v[30:31] offset:256
	v_dot4c_i32_i8_e32 v72, v19, v22
	v_dot4c_i32_i8_e32 v73, v20, v22
	;; [unrolled: 1-line block ×24, first 2 shown]
	buffer_store_dword v59, off, s[0:3], 0 offset:144
	buffer_store_dword v37, off, s[0:3], 0 offset:148
	buffer_store_dword v57, off, s[0:3], 0 offset:152
	buffer_store_dword v58, off, s[0:3], 0 offset:156
	buffer_store_dword v72, off, s[0:3], 0 offset:176
	buffer_store_dword v60, off, s[0:3], 0 offset:180
	buffer_store_dword v61, off, s[0:3], 0 offset:184
	buffer_store_dword v71, off, s[0:3], 0 offset:188
	buffer_store_dword v73, off, s[0:3], 0 offset:208
	buffer_store_dword v66, off, s[0:3], 0 offset:212
	buffer_store_dword v74, off, s[0:3], 0 offset:216
	buffer_store_dword v75, off, s[0:3], 0 offset:220
	buffer_store_dword v76, off, s[0:3], 0 offset:240
	buffer_store_dword v77, off, s[0:3], 0 offset:244
	buffer_store_dword v78, off, s[0:3], 0 offset:248
	buffer_store_dword v79, off, s[0:3], 0 offset:252
	buffer_store_dword v62, off, s[0:3], 0 offset:160
	buffer_store_dword v63, off, s[0:3], 0 offset:164
	buffer_store_dword v64, off, s[0:3], 0 offset:168
	buffer_store_dword v65, off, s[0:3], 0 offset:172
	buffer_store_dword v67, off, s[0:3], 0 offset:192
	buffer_store_dword v68, off, s[0:3], 0 offset:196
	buffer_store_dword v69, off, s[0:3], 0 offset:200
	buffer_store_dword v70, off, s[0:3], 0 offset:204
	buffer_store_dword v80, off, s[0:3], 0 offset:224
	buffer_store_dword v81, off, s[0:3], 0 offset:228
	buffer_store_dword v82, off, s[0:3], 0 offset:232
	buffer_store_dword v83, off, s[0:3], 0 offset:236
	buffer_store_dword v84, off, s[0:3], 0 offset:256
	buffer_store_dword v85, off, s[0:3], 0 offset:260
	buffer_store_dword v86, off, s[0:3], 0 offset:264
	buffer_store_dword v87, off, s[0:3], 0 offset:268
	s_waitcnt vmcnt(0) lgkmcnt(0)
	buffer_store_dword v12, off, s[0:3], 0 offset:16
	buffer_store_dword v13, off, s[0:3], 0 offset:20
	buffer_store_dword v14, off, s[0:3], 0 offset:24
	buffer_store_dword v15, off, s[0:3], 0 offset:28
	s_swappc_b64 s[30:31], s[52:53]
	buffer_load_dword v0, off, s[0:3], 0 offset:32
	buffer_load_dword v1, off, s[0:3], 0 offset:36
	;; [unrolled: 1-line block ×46, first 2 shown]
	s_waitcnt vmcnt(39)
	v_dot4c_i32_i8_e32 v6, v4, v0
	s_waitcnt vmcnt(38)
	v_dot4c_i32_i8_e32 v7, v4, v1
	;; [unrolled: 2-line block ×15, first 2 shown]
	v_perm_b32 v2, v101, v101, s78
	s_waitcnt vmcnt(22)
	v_dot4c_i32_i8_e32 v23, v19, v3
	s_waitcnt vmcnt(17)
	v_dot4c_i32_i8_e32 v28, v4, v24
	;; [unrolled: 2-line block ×17, first 2 shown]
	buffer_store_dword v6, off, s[0:3], 0 offset:272
	buffer_store_dword v7, off, s[0:3], 0 offset:276
	;; [unrolled: 1-line block ×18, first 2 shown]
	s_waitcnt vmcnt(18)
	v_add_co_u32_e32 v0, vcc, v67, v34
	v_addc_co_u32_e32 v1, vcc, 0, v66, vcc
	buffer_store_dword v30, off, s[0:3], 0 offset:296
	buffer_store_dword v31, off, s[0:3], 0 offset:300
	;; [unrolled: 1-line block ×14, first 2 shown]
	flat_store_dword v[0:1], v2
	flat_store_dword v[0:1], v100 offset:512
	v_perm_b32 v2, v99, v99, s78
	flat_store_dword v[0:1], v2 offset:1024
	flat_store_dword v[0:1], v98 offset:1536
	v_perm_b32 v2, v105, v105, s78
	flat_store_dword v[0:1], v2 offset:2048
	;; [unrolled: 3-line block ×3, first 2 shown]
	flat_store_dword v[0:1], v102 offset:3584
	buffer_load_dword v17, off, s[0:3], 0 offset:448
	buffer_load_dword v19, off, s[0:3], 0 offset:452
	v_add_u32_e32 v16, s73, v48
	v_add_u32_e32 v18, s73, v49
	;; [unrolled: 1-line block ×4, first 2 shown]
	v_lshrrev_b32_e32 v9, s68, v0
	v_lshrrev_b32_e32 v37, s68, v1
	v_perm_b32 v4, v93, v93, s78
	v_perm_b32 v5, v91, v91, s78
	;; [unrolled: 1-line block ×4, first 2 shown]
	v_add_u32_e32 v8, v43, v41
	v_add_u32_e32 v88, s88, v42
	v_cmp_gt_i32_e64 s[14:15], s69, v88
	s_waitcnt vmcnt(0)
	v_mad_u64_u32 v[0:1], s[4:5], s86, v9, v[16:17]
	v_sub_u32_e32 v1, v9, v56
	v_mad_u64_u32 v[2:3], s[4:5], s86, v37, v[18:19]
	v_sub_u32_e32 v3, v37, v9
	v_sub_u32_e32 v9, v0, v36
	v_mul_lo_u32 v56, v1, s60
	v_sub_u32_e32 v2, v2, v0
	v_mul_lo_u32 v0, v56, s25
	v_mul_lo_u32 v1, v9, s26
	v_add3_u32 v9, v1, v0, v55
	v_add_co_u32_e32 v0, vcc, v17, v34
	v_addc_co_u32_e32 v1, vcc, 0, v19, vcc
	v_mul_lo_u32 v57, v3, s60
	flat_store_dword v[0:1], v4
	flat_store_dword v[0:1], v92 offset:512
	flat_store_dword v[0:1], v5 offset:1024
	;; [unrolled: 1-line block ×7, first 2 shown]
	v_mul_lo_u32 v0, v57, s25
	v_mul_lo_u32 v1, v2, s26
	v_add3_u32 v36, v1, v0, v9
	buffer_load_dwordx4 v[4:7], v9, s[44:47], 0 offen
	buffer_load_dwordx4 v[0:3], v36, s[44:47], 0 offen
	v_add_u32_e32 v9, v42, v41
	buffer_load_dwordx4 v[12:15], v8, s[48:51], 0 offen
	s_nop 0
	buffer_load_dwordx4 v[8:11], v9, s[48:51], 0 offen
	s_waitcnt lgkmcnt(0)
	s_barrier
	buffer_load_dword v20, off, s[0:3], 0 offset:80
	s_nop 0
	buffer_store_dword v39, off, s[0:3], 0
	buffer_store_dword v39, off, s[0:3], 0 offset:4
	buffer_store_dword v39, off, s[0:3], 0 offset:8
	;; [unrolled: 1-line block ×15, first 2 shown]
	buffer_load_dword v24, off, s[0:3], 0 offset:112
	buffer_load_dword v58, off, s[0:3], 0 offset:160
	;; [unrolled: 1-line block ×5, first 2 shown]
	s_add_i32 s4, s87, s87
	v_add_u32_e32 v55, s88, v43
	v_add_u32_e32 v40, s4, v40
	v_cmp_gt_i32_e64 s[12:13], s69, v55
	v_cmp_gt_i32_e64 s[4:5], s37, v18
	s_waitcnt vmcnt(0)
	v_ashrrev_i32_e32 v25, 31, v24
	v_ashrrev_i32_e32 v21, 31, v20
	v_add_co_u32_e32 v32, vcc, v67, v20
	v_addc_co_u32_e32 v33, vcc, v66, v21, vcc
	flat_load_dwordx4 v[20:23], v[32:33]
	v_add_co_u32_e32 v28, vcc, v17, v24
	buffer_load_dword v62, off, s[0:3], 0 offset:192
	buffer_load_dword v63, off, s[0:3], 0 offset:196
	;; [unrolled: 1-line block ×3, first 2 shown]
	v_addc_co_u32_e32 v29, vcc, v19, v25, vcc
	v_cmp_gt_i32_e32 vcc, s37, v16
	v_mul_lo_u32 v16, v37, s66
	v_sub_u32_e32 v55, v40, v16
	v_add_u32_e32 v16, v56, v54
	v_cmp_le_i32_e64 s[16:17], s29, v16
	v_cmp_gt_i32_e64 s[18:19], s28, v16
	s_and_b64 s[30:31], s[16:17], s[18:19]
	s_and_b64 s[30:31], vcc, s[30:31]
	s_and_b64 vcc, s[8:9], s[30:31]
	v_add_u32_e32 v54, v57, v16
	v_cndmask_b32_e32 v56, 0, v7, vcc
	v_cndmask_b32_e32 v57, 0, v6, vcc
	;; [unrolled: 1-line block ×4, first 2 shown]
	v_cmp_le_i32_e64 s[16:17], s29, v54
	v_cmp_gt_i32_e64 s[18:19], s28, v54
	s_and_b64 s[16:17], s[16:17], s[18:19]
	s_and_b64 s[4:5], s[4:5], s[16:17]
	s_and_b64 vcc, s[8:9], s[4:5]
	v_cndmask_b32_e32 v90, 0, v3, vcc
	v_cndmask_b32_e32 v91, 0, v2, vcc
	v_cndmask_b32_e32 v92, 0, v1, vcc
	v_cndmask_b32_e32 v93, 0, v0, vcc
	s_and_b64 vcc, s[10:11], s[12:13]
	v_cndmask_b32_e32 v94, 0, v15, vcc
	v_cndmask_b32_e32 v95, 0, v14, vcc
	v_cndmask_b32_e32 v96, 0, v13, vcc
	v_cndmask_b32_e32 v97, 0, v12, vcc
	;; [unrolled: 5-line block ×3, first 2 shown]
	v_mov_b32_e32 v0, s70
	s_waitcnt vmcnt(0) lgkmcnt(0)
	buffer_store_dword v20, off, s[0:3], 0
	buffer_store_dword v21, off, s[0:3], 0 offset:4
	buffer_store_dword v22, off, s[0:3], 0 offset:8
	;; [unrolled: 1-line block ×3, first 2 shown]
	flat_load_dwordx4 v[24:27], v[28:29]
	v_mov_b32_e32 v1, s23
	v_mov_b32_e32 v2, s74
	;; [unrolled: 1-line block ×7, first 2 shown]
	s_waitcnt vmcnt(0) lgkmcnt(0)
	buffer_store_dword v24, off, s[0:3], 0 offset:32
	buffer_store_dword v25, off, s[0:3], 0 offset:36
	;; [unrolled: 1-line block ×4, first 2 shown]
	flat_load_dwordx4 v[28:31], v[28:29] offset:256
	s_nop 0
	buffer_load_dword v17, off, s[0:3], 0 offset:144
	buffer_load_dword v19, off, s[0:3], 0 offset:148
	buffer_load_dword v65, off, s[0:3], 0 offset:152
	buffer_load_dword v66, off, s[0:3], 0 offset:176
	buffer_load_dword v67, off, s[0:3], 0 offset:180
	buffer_load_dword v68, off, s[0:3], 0 offset:184
	buffer_load_dword v69, off, s[0:3], 0 offset:208
	buffer_load_dword v70, off, s[0:3], 0 offset:212
	buffer_load_dword v71, off, s[0:3], 0 offset:216
	buffer_load_dword v72, off, s[0:3], 0 offset:220
	buffer_load_dword v73, off, s[0:3], 0 offset:240
	buffer_load_dword v74, off, s[0:3], 0 offset:244
	buffer_load_dword v75, off, s[0:3], 0 offset:248
	buffer_load_dword v76, off, s[0:3], 0 offset:252
	buffer_load_dword v77, off, s[0:3], 0 offset:172
	buffer_load_dword v78, off, s[0:3], 0 offset:200
	buffer_load_dword v79, off, s[0:3], 0 offset:224
	buffer_load_dword v80, off, s[0:3], 0 offset:228
	buffer_load_dword v81, off, s[0:3], 0 offset:204
	buffer_load_dword v82, off, s[0:3], 0 offset:232
	buffer_load_dword v83, off, s[0:3], 0 offset:256
	buffer_load_dword v84, off, s[0:3], 0 offset:260
	buffer_load_dword v85, off, s[0:3], 0 offset:236
	buffer_load_dword v86, off, s[0:3], 0 offset:264
	buffer_load_dword v87, off, s[0:3], 0 offset:268
	v_dot4c_i32_i8_e32 v61, v20, v27
	v_dot4c_i32_i8_e32 v64, v21, v27
	s_waitcnt vmcnt(0) lgkmcnt(0)
	buffer_store_dword v28, off, s[0:3], 0 offset:48
	buffer_store_dword v29, off, s[0:3], 0 offset:52
	;; [unrolled: 1-line block ×4, first 2 shown]
	flat_load_dwordx4 v[4:7], v[32:33] offset:256
	v_dot4c_i32_i8_e32 v17, v20, v24
	v_dot4c_i32_i8_e32 v19, v20, v25
	;; [unrolled: 1-line block ×30, first 2 shown]
	buffer_store_dword v17, off, s[0:3], 0 offset:144
	buffer_store_dword v19, off, s[0:3], 0 offset:148
	;; [unrolled: 1-line block ×32, first 2 shown]
	s_waitcnt vmcnt(0) lgkmcnt(0)
	buffer_store_dword v4, off, s[0:3], 0 offset:16
	buffer_store_dword v5, off, s[0:3], 0 offset:20
	buffer_store_dword v6, off, s[0:3], 0 offset:24
	buffer_store_dword v7, off, s[0:3], 0 offset:28
	v_mov_b32_e32 v4, s79
	v_mov_b32_e32 v5, s80
	;; [unrolled: 1-line block ×4, first 2 shown]
	s_swappc_b64 s[30:31], s[52:53]
	buffer_load_dword v0, off, s[0:3], 0 offset:32
	buffer_load_dword v1, off, s[0:3], 0 offset:36
	;; [unrolled: 1-line block ×46, first 2 shown]
	s_add_i32 s89, s89, 32
	s_add_i32 s88, s88, s84
	;; [unrolled: 1-line block ×3, first 2 shown]
	v_add_u32_e32 v41, s84, v41
	v_add_u32_e32 v53, s85, v53
	;; [unrolled: 1-line block ×4, first 2 shown]
	s_cmp_lt_i32 s89, s83
	v_add_u32_e32 v50, s85, v50
	s_waitcnt vmcnt(39)
	v_dot4c_i32_i8_e32 v6, v4, v0
	s_waitcnt vmcnt(38)
	v_dot4c_i32_i8_e32 v7, v4, v1
	;; [unrolled: 2-line block ×15, first 2 shown]
	v_perm_b32 v2, v89, v89, s78
	s_waitcnt vmcnt(22)
	v_dot4c_i32_i8_e32 v23, v19, v3
	v_perm_b32 v3, v95, v95, s78
	s_waitcnt vmcnt(17)
	v_dot4c_i32_i8_e32 v28, v4, v24
	s_waitcnt vmcnt(16)
	v_dot4c_i32_i8_e32 v29, v4, v27
	s_waitcnt vmcnt(15)
	v_dot4c_i32_i8_e32 v30, v4, v26
	s_waitcnt vmcnt(14)
	v_dot4c_i32_i8_e32 v31, v4, v25
	s_waitcnt vmcnt(13)
	v_dot4c_i32_i8_e32 v32, v5, v24
	s_waitcnt vmcnt(12)
	v_dot4c_i32_i8_e32 v33, v5, v27
	s_waitcnt vmcnt(11)
	v_dot4c_i32_i8_e32 v58, v5, v26
	s_waitcnt vmcnt(10)
	v_dot4c_i32_i8_e32 v59, v5, v25
	s_waitcnt vmcnt(9)
	v_dot4c_i32_i8_e32 v60, v14, v24
	s_waitcnt vmcnt(8)
	v_dot4c_i32_i8_e32 v61, v14, v27
	s_waitcnt vmcnt(7)
	v_dot4c_i32_i8_e32 v62, v14, v26
	s_waitcnt vmcnt(6)
	v_dot4c_i32_i8_e32 v63, v14, v25
	s_waitcnt vmcnt(5)
	v_dot4c_i32_i8_e32 v64, v19, v24
	s_waitcnt vmcnt(4)
	v_dot4c_i32_i8_e32 v65, v19, v27
	s_waitcnt vmcnt(3)
	v_dot4c_i32_i8_e32 v66, v19, v26
	s_waitcnt vmcnt(2)
	v_dot4c_i32_i8_e32 v67, v19, v25
	buffer_store_dword v6, off, s[0:3], 0 offset:272
	buffer_store_dword v7, off, s[0:3], 0 offset:276
	;; [unrolled: 1-line block ×18, first 2 shown]
	s_waitcnt vmcnt(18)
	v_add_co_u32_e32 v0, vcc, v69, v34
	v_addc_co_u32_e32 v1, vcc, 0, v68, vcc
	buffer_store_dword v30, off, s[0:3], 0 offset:296
	buffer_store_dword v31, off, s[0:3], 0 offset:300
	;; [unrolled: 1-line block ×14, first 2 shown]
	flat_store_dword v[0:1], v2
	flat_store_dword v[0:1], v88 offset:512
	v_perm_b32 v2, v57, v57, s78
	flat_store_dword v[0:1], v2 offset:1024
	flat_store_dword v[0:1], v56 offset:1536
	v_perm_b32 v2, v93, v93, s78
	flat_store_dword v[0:1], v2 offset:2048
	;; [unrolled: 3-line block ×3, first 2 shown]
	flat_store_dword v[0:1], v90 offset:3584
	buffer_load_dword v0, off, s[0:3], 0 offset:416
	s_nop 0
	buffer_load_dword v1, off, s[0:3], 0 offset:420
	v_perm_b32 v2, v97, v97, s78
	v_perm_b32 v4, v101, v101, s78
	;; [unrolled: 1-line block ×3, first 2 shown]
	s_waitcnt vmcnt(0)
	v_add_co_u32_e32 v0, vcc, v0, v34
	v_addc_co_u32_e32 v1, vcc, 0, v1, vcc
	flat_store_dword v[0:1], v2
	flat_store_dword v[0:1], v96 offset:512
	flat_store_dword v[0:1], v3 offset:1024
	;; [unrolled: 1-line block ×7, first 2 shown]
	s_cbranch_scc1 .LBB3_1
; %bb.2:
	s_waitcnt lgkmcnt(0)
	s_barrier
	buffer_load_dword v0, off, s[0:3], 0 offset:80
	buffer_load_dword v1, off, s[0:3], 0 offset:400
	;; [unrolled: 1-line block ×3, first 2 shown]
	v_mov_b32_e32 v34, 0
	buffer_load_dword v4, off, s[0:3], 0 offset:112
	buffer_load_dword v5, off, s[0:3], 0 offset:416
	;; [unrolled: 1-line block ×13, first 2 shown]
	s_nop 0
	buffer_store_dword v34, off, s[0:3], 0
	buffer_store_dword v34, off, s[0:3], 0 offset:4
	buffer_store_dword v34, off, s[0:3], 0 offset:8
	;; [unrolled: 1-line block ×15, first 2 shown]
	s_load_dwordx2 s[6:7], s[6:7], 0x10
	s_add_u32 s36, s58, s36
	s_mul_i32 s8, s20, s64
	s_mul_hi_u32 s9, s20, s63
	s_mov_b64 s[4:5], src_private_base
	s_mul_i32 s10, s21, s63
	s_addc_u32 s37, s59, s65
	s_add_i32 s4, s9, s8
	s_mul_i32 s11, s20, s63
	s_add_i32 s4, s4, s10
	s_waitcnt lgkmcnt(0)
	s_add_u32 s40, s6, s11
	s_addc_u32 s41, s7, s4
	s_waitcnt vmcnt(0)
	v_ashrrev_i32_e32 v7, 31, v4
	v_ashrrev_i32_e32 v3, 31, v0
	v_add_co_u32_e32 v12, vcc, v1, v0
	v_addc_co_u32_e32 v13, vcc, v2, v3, vcc
	flat_load_dwordx4 v[0:3], v[12:13]
	v_add_co_u32_e32 v8, vcc, v5, v4
	buffer_load_dword v26, off, s[0:3], 0 offset:212
	buffer_load_dword v27, off, s[0:3], 0 offset:192
	;; [unrolled: 1-line block ×6, first 2 shown]
	v_addc_co_u32_e32 v9, vcc, v6, v7, vcc
	s_waitcnt vmcnt(0) lgkmcnt(0)
	buffer_store_dword v0, off, s[0:3], 0
	buffer_store_dword v1, off, s[0:3], 0 offset:4
	buffer_store_dword v2, off, s[0:3], 0 offset:8
	;; [unrolled: 1-line block ×3, first 2 shown]
	flat_load_dwordx4 v[4:7], v[8:9]
	s_waitcnt vmcnt(0) lgkmcnt(0)
	buffer_store_dword v4, off, s[0:3], 0 offset:32
	buffer_store_dword v5, off, s[0:3], 0 offset:36
	;; [unrolled: 1-line block ×4, first 2 shown]
	flat_load_dwordx4 v[8:11], v[8:9] offset:256
	s_nop 0
	buffer_load_dword v32, off, s[0:3], 0 offset:176
	buffer_load_dword v33, off, s[0:3], 0 offset:208
	buffer_load_dword v36, off, s[0:3], 0 offset:216
	buffer_load_dword v37, off, s[0:3], 0 offset:220
	buffer_load_dword v39, off, s[0:3], 0 offset:240
	buffer_load_dword v40, off, s[0:3], 0 offset:244
	buffer_load_dword v41, off, s[0:3], 0 offset:248
	buffer_load_dword v42, off, s[0:3], 0 offset:252
	buffer_load_dword v43, off, s[0:3], 0 offset:224
	buffer_load_dword v44, off, s[0:3], 0 offset:228
	buffer_load_dword v45, off, s[0:3], 0 offset:232
	buffer_load_dword v46, off, s[0:3], 0 offset:236
	buffer_load_dword v47, off, s[0:3], 0 offset:256
	buffer_load_dword v48, off, s[0:3], 0 offset:260
	buffer_load_dword v49, off, s[0:3], 0 offset:264
	buffer_load_dword v50, off, s[0:3], 0 offset:268
	v_dot4c_i32_i8_e32 v19, v0, v4
	v_dot4c_i32_i8_e32 v16, v0, v5
	v_dot4c_i32_i8_e32 v17, v0, v6
	v_dot4c_i32_i8_e32 v18, v0, v7
	v_dot4c_i32_i8_e32 v20, v1, v5
	v_dot4c_i32_i8_e32 v21, v1, v6
	v_dot4c_i32_i8_e32 v31, v1, v7
	v_dot4c_i32_i8_e32 v26, v2, v5
	s_waitcnt vmcnt(0) lgkmcnt(0)
	buffer_store_dword v8, off, s[0:3], 0 offset:48
	buffer_store_dword v9, off, s[0:3], 0 offset:52
	;; [unrolled: 1-line block ×4, first 2 shown]
	flat_load_dwordx4 v[12:15], v[12:13] offset:256
	v_dot4c_i32_i8_e32 v32, v1, v4
	v_dot4c_i32_i8_e32 v33, v2, v4
	;; [unrolled: 1-line block ×24, first 2 shown]
	v_mov_b32_e32 v0, s70
	v_mov_b32_e32 v1, s23
	;; [unrolled: 1-line block ×12, first 2 shown]
	buffer_store_dword v19, off, s[0:3], 0 offset:144
	buffer_store_dword v16, off, s[0:3], 0 offset:148
	;; [unrolled: 1-line block ×32, first 2 shown]
	s_waitcnt vmcnt(0) lgkmcnt(0)
	buffer_store_dword v12, off, s[0:3], 0 offset:16
	buffer_store_dword v13, off, s[0:3], 0 offset:20
	;; [unrolled: 1-line block ×4, first 2 shown]
	s_swappc_b64 s[30:31], s[52:53]
	buffer_load_dword v19, off, s[0:3], 0 offset:32
	buffer_load_dword v33, off, s[0:3], 0 offset:36
	;; [unrolled: 1-line block ×57, first 2 shown]
	s_mov_b32 s43, 0x20000
	s_lshl_b32 s10, s57, 6
	s_lshl_b32 s8, s57, 7
	s_add_i32 s9, s10, s56
	s_sub_i32 s11, s9, s8
	s_mov_b32 s39, s43
	s_lshl_b32 s12, s34, 6
	s_waitcnt vmcnt(50)
	v_dot4c_i32_i8_e32 v25, v39, v19
	s_waitcnt vmcnt(49)
	v_dot4c_i32_i8_e32 v24, v39, v33
	;; [unrolled: 2-line block ×12, first 2 shown]
	buffer_store_dword v25, off, s[0:3], 0 offset:272
	buffer_store_dword v24, off, s[0:3], 0 offset:276
	;; [unrolled: 1-line block ×12, first 2 shown]
	s_waitcnt vmcnt(48)
	v_dot4c_i32_i8_e32 v0, v42, v19
	s_waitcnt vmcnt(47)
	v_dot4c_i32_i8_e32 v1, v42, v33
	v_lshl_add_u32 v33, s55, 7, v35
	v_lshl_add_u32 v35, s54, 7, v38
	s_waitcnt vmcnt(46)
	v_dot4c_i32_i8_e32 v2, v42, v36
	s_waitcnt vmcnt(45)
	v_dot4c_i32_i8_e32 v3, v42, v37
	;; [unrolled: 2-line block ×4, first 2 shown]
	v_mul_lo_u32 v36, v35, s56
	s_waitcnt vmcnt(39)
	v_dot4c_i32_i8_e32 v31, v39, v45
	buffer_store_dword v0, off, s[0:3], 0 offset:368
	s_waitcnt vmcnt(38)
	v_dot4c_i32_i8_e32 v32, v39, v46
	s_waitcnt vmcnt(37)
	v_dot4c_i32_i8_e32 v21, v40, v43
	;; [unrolled: 2-line block ×13, first 2 shown]
	buffer_store_dword v1, off, s[0:3], 0 offset:372
	buffer_store_dword v2, off, s[0:3], 0 offset:376
	;; [unrolled: 1-line block ×19, first 2 shown]
	v_mad_u64_u32 v[36:37], s[4:5], v33, s57, v[36:37]
	buffer_load_dword v19, v36, s[40:43], 0 offen
	v_cmp_gt_i32_e64 s[4:5], s62, v33
	v_cmp_gt_i32_e64 s[6:7], s27, v35
	s_and_b64 vcc, s[6:7], s[4:5]
	v_add_u32_e32 v36, s10, v36
	v_add_u32_e32 v41, 64, v33
	s_waitcnt vmcnt(0)
	v_cndmask_b32_e32 v19, 0, v19, vcc
	v_add_u16_sdwa v37, v19, v47 dst_sel:DWORD dst_unused:UNUSED_PAD src0_sel:BYTE_3 src1_sel:DWORD
	v_add_u16_sdwa v38, v19, v48 dst_sel:DWORD dst_unused:UNUSED_PAD src0_sel:WORD_1 src1_sel:DWORD
	v_add_u16_sdwa v39, v19, v49 dst_sel:DWORD dst_unused:UNUSED_PAD src0_sel:BYTE_1 src1_sel:DWORD
	v_add_u16_e32 v19, v19, v50
	v_max_i16_sdwa v40, sext(v19), v34 dst_sel:DWORD dst_unused:UNUSED_PAD src0_sel:BYTE_0 src1_sel:DWORD
	v_max_i16_sdwa v39, sext(v39), v34 dst_sel:DWORD dst_unused:UNUSED_PAD src0_sel:BYTE_0 src1_sel:DWORD
	;; [unrolled: 1-line block ×4, first 2 shown]
	buffer_store_dword v40, off, s[0:3], 0 offset:144
	buffer_store_dword v37, off, s[0:3], 0 offset:156
	;; [unrolled: 1-line block ×4, first 2 shown]
	buffer_load_dword v19, v36, s[40:43], 0 offen
	v_cmp_gt_i32_e32 vcc, s62, v41
	s_and_b64 s[6:7], s[6:7], vcc
	v_add_u32_e32 v36, s11, v36
	s_waitcnt vmcnt(0)
	v_cndmask_b32_e64 v19, 0, v19, s[6:7]
	v_add_u16_e32 v42, v19, v52
	v_add_u16_sdwa v43, v19, v53 dst_sel:DWORD dst_unused:UNUSED_PAD src0_sel:BYTE_3 src1_sel:DWORD
	v_add_u16_sdwa v44, v19, v58 dst_sel:DWORD dst_unused:UNUSED_PAD src0_sel:WORD_1 src1_sel:DWORD
	v_add_u16_sdwa v19, v19, v51 dst_sel:DWORD dst_unused:UNUSED_PAD src0_sel:BYTE_1 src1_sel:DWORD
	v_max_i16_sdwa v42, sext(v42), v34 dst_sel:DWORD dst_unused:UNUSED_PAD src0_sel:BYTE_0 src1_sel:DWORD
	v_max_i16_sdwa v19, sext(v19), v34 dst_sel:DWORD dst_unused:UNUSED_PAD src0_sel:BYTE_0 src1_sel:DWORD
	;; [unrolled: 1-line block ×4, first 2 shown]
	buffer_store_dword v42, off, s[0:3], 0 offset:160
	buffer_store_dword v43, off, s[0:3], 0 offset:172
	;; [unrolled: 1-line block ×4, first 2 shown]
	buffer_load_dword v19, v36, s[40:43], 0 offen
	v_or_b32_e32 v42, 1, v35
	v_cmp_gt_i32_e64 s[6:7], s27, v42
	s_and_b64 s[8:9], s[6:7], s[4:5]
	v_add_u32_e32 v36, s10, v36
	s_and_b64 s[6:7], s[6:7], vcc
	s_waitcnt vmcnt(0)
	v_cndmask_b32_e64 v19, 0, v19, s[8:9]
	v_add_u16_e32 v43, v19, v54
	v_add_u16_sdwa v44, v19, v57 dst_sel:DWORD dst_unused:UNUSED_PAD src0_sel:BYTE_3 src1_sel:DWORD
	v_add_u16_sdwa v45, v19, v56 dst_sel:DWORD dst_unused:UNUSED_PAD src0_sel:WORD_1 src1_sel:DWORD
	v_add_u16_sdwa v19, v19, v55 dst_sel:DWORD dst_unused:UNUSED_PAD src0_sel:BYTE_1 src1_sel:DWORD
	v_max_i16_sdwa v43, sext(v43), v34 dst_sel:DWORD dst_unused:UNUSED_PAD src0_sel:BYTE_0 src1_sel:DWORD
	v_max_i16_sdwa v19, sext(v19), v34 dst_sel:DWORD dst_unused:UNUSED_PAD src0_sel:BYTE_0 src1_sel:DWORD
	;; [unrolled: 1-line block ×4, first 2 shown]
	buffer_store_dword v43, off, s[0:3], 0 offset:176
	buffer_store_dword v44, off, s[0:3], 0 offset:188
	;; [unrolled: 1-line block ×4, first 2 shown]
	buffer_load_dword v19, v36, s[40:43], 0 offen
	s_nop 0
	buffer_load_dword v43, off, s[0:3], 0 offset:192
	buffer_load_dword v44, off, s[0:3], 0 offset:204
	;; [unrolled: 1-line block ×8, first 2 shown]
	v_add_u32_e32 v36, s11, v36
	s_waitcnt vmcnt(8)
	v_cndmask_b32_e64 v19, 0, v19, s[6:7]
	s_waitcnt vmcnt(7)
	v_add_u16_e32 v43, v19, v43
	s_waitcnt vmcnt(6)
	v_add_u16_sdwa v44, v19, v44 dst_sel:DWORD dst_unused:UNUSED_PAD src0_sel:BYTE_3 src1_sel:DWORD
	s_waitcnt vmcnt(5)
	v_add_u16_sdwa v45, v19, v45 dst_sel:DWORD dst_unused:UNUSED_PAD src0_sel:WORD_1 src1_sel:DWORD
	s_waitcnt vmcnt(4)
	v_add_u16_sdwa v19, v19, v46 dst_sel:DWORD dst_unused:UNUSED_PAD src0_sel:BYTE_1 src1_sel:DWORD
	v_max_i16_sdwa v43, sext(v43), v34 dst_sel:DWORD dst_unused:UNUSED_PAD src0_sel:BYTE_0 src1_sel:DWORD
	v_max_i16_sdwa v19, sext(v19), v34 dst_sel:DWORD dst_unused:UNUSED_PAD src0_sel:BYTE_0 src1_sel:DWORD
	v_max_i16_sdwa v45, sext(v45), v34 dst_sel:DWORD dst_unused:UNUSED_PAD src0_sel:BYTE_0 src1_sel:DWORD
	v_max_i16_sdwa v44, sext(v44), v34 dst_sel:DWORD dst_unused:UNUSED_PAD src0_sel:BYTE_0 src1_sel:DWORD
	buffer_store_dword v43, off, s[0:3], 0 offset:192
	buffer_store_dword v44, off, s[0:3], 0 offset:204
	;; [unrolled: 1-line block ×4, first 2 shown]
	buffer_load_dword v19, v36, s[40:43], 0 offen
	v_or_b32_e32 v43, 2, v35
	v_cmp_gt_i32_e64 s[6:7], s27, v43
	s_and_b64 s[8:9], s[6:7], s[4:5]
	v_add_u32_e32 v36, s10, v36
	s_and_b64 s[6:7], s[6:7], vcc
	s_waitcnt vmcnt(0)
	v_cndmask_b32_e64 v19, 0, v19, s[8:9]
	v_add_u16_e32 v44, v19, v47
	v_add_u16_sdwa v45, v19, v50 dst_sel:DWORD dst_unused:UNUSED_PAD src0_sel:BYTE_3 src1_sel:DWORD
	v_add_u16_sdwa v46, v19, v49 dst_sel:DWORD dst_unused:UNUSED_PAD src0_sel:WORD_1 src1_sel:DWORD
	v_add_u16_sdwa v19, v19, v48 dst_sel:DWORD dst_unused:UNUSED_PAD src0_sel:BYTE_1 src1_sel:DWORD
	v_max_i16_sdwa v44, sext(v44), v34 dst_sel:DWORD dst_unused:UNUSED_PAD src0_sel:BYTE_0 src1_sel:DWORD
	v_max_i16_sdwa v19, sext(v19), v34 dst_sel:DWORD dst_unused:UNUSED_PAD src0_sel:BYTE_0 src1_sel:DWORD
	;; [unrolled: 1-line block ×4, first 2 shown]
	buffer_store_dword v44, off, s[0:3], 0 offset:208
	buffer_store_dword v45, off, s[0:3], 0 offset:220
	;; [unrolled: 1-line block ×4, first 2 shown]
	buffer_load_dword v19, v36, s[40:43], 0 offen
	s_nop 0
	buffer_load_dword v44, off, s[0:3], 0 offset:224
	buffer_load_dword v45, off, s[0:3], 0 offset:236
	buffer_load_dword v46, off, s[0:3], 0 offset:232
	buffer_load_dword v47, off, s[0:3], 0 offset:228
	buffer_load_dword v48, off, s[0:3], 0 offset:240
	buffer_load_dword v49, off, s[0:3], 0 offset:244
	buffer_load_dword v50, off, s[0:3], 0 offset:248
	buffer_load_dword v51, off, s[0:3], 0 offset:252
	v_add_u32_e32 v36, s11, v36
	s_waitcnt vmcnt(8)
	v_cndmask_b32_e64 v19, 0, v19, s[6:7]
	s_waitcnt vmcnt(7)
	v_add_u16_e32 v44, v19, v44
	s_waitcnt vmcnt(6)
	v_add_u16_sdwa v45, v19, v45 dst_sel:DWORD dst_unused:UNUSED_PAD src0_sel:BYTE_3 src1_sel:DWORD
	s_waitcnt vmcnt(5)
	v_add_u16_sdwa v46, v19, v46 dst_sel:DWORD dst_unused:UNUSED_PAD src0_sel:WORD_1 src1_sel:DWORD
	s_waitcnt vmcnt(4)
	v_add_u16_sdwa v19, v19, v47 dst_sel:DWORD dst_unused:UNUSED_PAD src0_sel:BYTE_1 src1_sel:DWORD
	v_max_i16_sdwa v44, sext(v44), v34 dst_sel:DWORD dst_unused:UNUSED_PAD src0_sel:BYTE_0 src1_sel:DWORD
	v_max_i16_sdwa v19, sext(v19), v34 dst_sel:DWORD dst_unused:UNUSED_PAD src0_sel:BYTE_0 src1_sel:DWORD
	v_max_i16_sdwa v46, sext(v46), v34 dst_sel:DWORD dst_unused:UNUSED_PAD src0_sel:BYTE_0 src1_sel:DWORD
	v_max_i16_sdwa v45, sext(v45), v34 dst_sel:DWORD dst_unused:UNUSED_PAD src0_sel:BYTE_0 src1_sel:DWORD
	buffer_store_dword v44, off, s[0:3], 0 offset:224
	buffer_store_dword v45, off, s[0:3], 0 offset:236
	;; [unrolled: 1-line block ×4, first 2 shown]
	buffer_load_dword v19, v36, s[40:43], 0 offen
	v_or_b32_e32 v44, 3, v35
	v_cmp_gt_i32_e64 s[6:7], s27, v44
	s_and_b64 s[8:9], s[6:7], s[4:5]
	v_add_u32_e32 v36, s10, v36
	s_and_b64 s[6:7], s[6:7], vcc
	s_waitcnt vmcnt(0)
	v_cndmask_b32_e64 v19, 0, v19, s[8:9]
	v_add_u16_e32 v45, v19, v48
	v_add_u16_sdwa v46, v19, v51 dst_sel:DWORD dst_unused:UNUSED_PAD src0_sel:BYTE_3 src1_sel:DWORD
	v_add_u16_sdwa v47, v19, v50 dst_sel:DWORD dst_unused:UNUSED_PAD src0_sel:WORD_1 src1_sel:DWORD
	v_add_u16_sdwa v19, v19, v49 dst_sel:DWORD dst_unused:UNUSED_PAD src0_sel:BYTE_1 src1_sel:DWORD
	v_max_i16_sdwa v45, sext(v45), v34 dst_sel:DWORD dst_unused:UNUSED_PAD src0_sel:BYTE_0 src1_sel:DWORD
	v_max_i16_sdwa v19, sext(v19), v34 dst_sel:DWORD dst_unused:UNUSED_PAD src0_sel:BYTE_0 src1_sel:DWORD
	;; [unrolled: 1-line block ×4, first 2 shown]
	buffer_store_dword v45, off, s[0:3], 0 offset:240
	buffer_store_dword v46, off, s[0:3], 0 offset:252
	;; [unrolled: 1-line block ×4, first 2 shown]
	buffer_load_dword v19, v36, s[40:43], 0 offen
	s_nop 0
	buffer_load_dword v45, off, s[0:3], 0 offset:256
	buffer_load_dword v46, off, s[0:3], 0 offset:264
	;; [unrolled: 1-line block ×3, first 2 shown]
	s_mul_i32 s8, s56, 60
	s_add_i32 s8, s11, s8
	v_add_u32_e32 v36, s8, v36
	s_waitcnt vmcnt(3)
	v_cndmask_b32_e64 v19, 0, v19, s[6:7]
	s_waitcnt vmcnt(2)
	v_add_u16_e32 v45, v19, v45
	v_add_u16_sdwa v48, v19, v59 dst_sel:DWORD dst_unused:UNUSED_PAD src0_sel:BYTE_3 src1_sel:DWORD
	s_waitcnt vmcnt(1)
	v_add_u16_sdwa v46, v19, v46 dst_sel:DWORD dst_unused:UNUSED_PAD src0_sel:WORD_1 src1_sel:DWORD
	s_waitcnt vmcnt(0)
	v_add_u16_sdwa v19, v19, v47 dst_sel:DWORD dst_unused:UNUSED_PAD src0_sel:BYTE_1 src1_sel:DWORD
	v_max_i16_sdwa v45, sext(v45), v34 dst_sel:DWORD dst_unused:UNUSED_PAD src0_sel:BYTE_0 src1_sel:DWORD
	v_max_i16_sdwa v19, sext(v19), v34 dst_sel:DWORD dst_unused:UNUSED_PAD src0_sel:BYTE_0 src1_sel:DWORD
	;; [unrolled: 1-line block ×4, first 2 shown]
	buffer_store_dword v45, off, s[0:3], 0 offset:256
	buffer_store_dword v47, off, s[0:3], 0 offset:268
	;; [unrolled: 1-line block ×4, first 2 shown]
	buffer_load_dword v45, v36, s[40:43], 0 offen
	v_add_u32_e32 v19, 64, v35
	v_cmp_gt_i32_e64 s[6:7], s27, v19
	s_and_b64 s[8:9], s[6:7], s[4:5]
	v_add_u32_e32 v36, s10, v36
	s_and_b64 s[6:7], s[6:7], vcc
	s_waitcnt vmcnt(0)
	v_cndmask_b32_e64 v45, 0, v45, s[8:9]
	v_add_u16_e32 v25, v45, v25
	v_add_u16_sdwa v27, v45, v27 dst_sel:DWORD dst_unused:UNUSED_PAD src0_sel:BYTE_3 src1_sel:DWORD
	v_add_u16_sdwa v26, v45, v26 dst_sel:DWORD dst_unused:UNUSED_PAD src0_sel:WORD_1 src1_sel:DWORD
	v_add_u16_sdwa v24, v45, v24 dst_sel:DWORD dst_unused:UNUSED_PAD src0_sel:BYTE_1 src1_sel:DWORD
	v_max_i16_sdwa v25, sext(v25), v34 dst_sel:DWORD dst_unused:UNUSED_PAD src0_sel:BYTE_0 src1_sel:DWORD
	v_max_i16_sdwa v24, sext(v24), v34 dst_sel:DWORD dst_unused:UNUSED_PAD src0_sel:BYTE_0 src1_sel:DWORD
	;; [unrolled: 1-line block ×4, first 2 shown]
	buffer_store_dword v25, off, s[0:3], 0 offset:272
	buffer_store_dword v27, off, s[0:3], 0 offset:284
	;; [unrolled: 1-line block ×4, first 2 shown]
	buffer_load_dword v24, v36, s[40:43], 0 offen
	v_add_u32_e32 v25, s11, v36
	s_waitcnt vmcnt(0)
	v_cndmask_b32_e64 v24, 0, v24, s[6:7]
	v_add_u16_e32 v26, v24, v29
	v_add_u16_sdwa v27, v24, v32 dst_sel:DWORD dst_unused:UNUSED_PAD src0_sel:BYTE_3 src1_sel:DWORD
	v_add_u16_sdwa v29, v24, v31 dst_sel:DWORD dst_unused:UNUSED_PAD src0_sel:WORD_1 src1_sel:DWORD
	v_add_u16_sdwa v24, v24, v30 dst_sel:DWORD dst_unused:UNUSED_PAD src0_sel:BYTE_1 src1_sel:DWORD
	v_max_i16_sdwa v26, sext(v26), v34 dst_sel:DWORD dst_unused:UNUSED_PAD src0_sel:BYTE_0 src1_sel:DWORD
	v_max_i16_sdwa v24, sext(v24), v34 dst_sel:DWORD dst_unused:UNUSED_PAD src0_sel:BYTE_0 src1_sel:DWORD
	;; [unrolled: 1-line block ×4, first 2 shown]
	buffer_store_dword v26, off, s[0:3], 0 offset:288
	buffer_store_dword v27, off, s[0:3], 0 offset:300
	buffer_store_dword v29, off, s[0:3], 0 offset:296
	buffer_store_dword v24, off, s[0:3], 0 offset:292
	buffer_load_dword v26, v25, s[40:43], 0 offen
	v_add_u32_e32 v24, 0x41, v35
	v_cmp_gt_i32_e64 s[6:7], s27, v24
	s_and_b64 s[8:9], s[6:7], s[4:5]
	v_add_u32_e32 v25, s10, v25
	s_and_b64 s[6:7], s[6:7], vcc
	s_waitcnt vmcnt(0)
	v_cndmask_b32_e64 v26, 0, v26, s[8:9]
	v_add_u16_e32 v13, v26, v13
	v_add_u16_sdwa v20, v26, v20 dst_sel:DWORD dst_unused:UNUSED_PAD src0_sel:BYTE_3 src1_sel:DWORD
	v_add_u16_sdwa v18, v26, v18 dst_sel:DWORD dst_unused:UNUSED_PAD src0_sel:WORD_1 src1_sel:DWORD
	v_add_u16_sdwa v12, v26, v12 dst_sel:DWORD dst_unused:UNUSED_PAD src0_sel:BYTE_1 src1_sel:DWORD
	v_max_i16_sdwa v13, sext(v13), v34 dst_sel:DWORD dst_unused:UNUSED_PAD src0_sel:BYTE_0 src1_sel:DWORD
	v_max_i16_sdwa v12, sext(v12), v34 dst_sel:DWORD dst_unused:UNUSED_PAD src0_sel:BYTE_0 src1_sel:DWORD
	v_max_i16_sdwa v18, sext(v18), v34 dst_sel:DWORD dst_unused:UNUSED_PAD src0_sel:BYTE_0 src1_sel:DWORD
	v_max_i16_sdwa v20, sext(v20), v34 dst_sel:DWORD dst_unused:UNUSED_PAD src0_sel:BYTE_0 src1_sel:DWORD
	buffer_store_dword v13, off, s[0:3], 0 offset:304
	buffer_store_dword v20, off, s[0:3], 0 offset:316
	;; [unrolled: 1-line block ×4, first 2 shown]
	buffer_load_dword v12, v25, s[40:43], 0 offen
	v_add_u32_e32 v13, s11, v25
	s_waitcnt vmcnt(0)
	v_cndmask_b32_e64 v12, 0, v12, s[6:7]
	v_add_u16_e32 v18, v12, v21
	v_add_u16_sdwa v20, v12, v28 dst_sel:DWORD dst_unused:UNUSED_PAD src0_sel:BYTE_3 src1_sel:DWORD
	v_add_u16_sdwa v21, v12, v23 dst_sel:DWORD dst_unused:UNUSED_PAD src0_sel:WORD_1 src1_sel:DWORD
	v_add_u16_sdwa v12, v12, v22 dst_sel:DWORD dst_unused:UNUSED_PAD src0_sel:BYTE_1 src1_sel:DWORD
	v_max_i16_sdwa v18, sext(v18), v34 dst_sel:DWORD dst_unused:UNUSED_PAD src0_sel:BYTE_0 src1_sel:DWORD
	v_max_i16_sdwa v12, sext(v12), v34 dst_sel:DWORD dst_unused:UNUSED_PAD src0_sel:BYTE_0 src1_sel:DWORD
	;; [unrolled: 1-line block ×4, first 2 shown]
	buffer_store_dword v18, off, s[0:3], 0 offset:320
	buffer_store_dword v20, off, s[0:3], 0 offset:332
	;; [unrolled: 1-line block ×4, first 2 shown]
	buffer_load_dword v12, v13, s[40:43], 0 offen
	v_add_u32_e32 v18, 0x42, v35
	v_cmp_gt_i32_e64 s[6:7], s27, v18
	s_and_b64 s[8:9], s[6:7], s[4:5]
	v_add_u32_e32 v13, s10, v13
	s_and_b64 s[6:7], s[6:7], vcc
	s_waitcnt vmcnt(0)
	v_cndmask_b32_e64 v12, 0, v12, s[8:9]
	v_add_u16_e32 v8, v12, v8
	v_add_u16_sdwa v11, v12, v11 dst_sel:DWORD dst_unused:UNUSED_PAD src0_sel:BYTE_3 src1_sel:DWORD
	v_add_u16_sdwa v10, v12, v10 dst_sel:DWORD dst_unused:UNUSED_PAD src0_sel:WORD_1 src1_sel:DWORD
	v_add_u16_sdwa v9, v12, v9 dst_sel:DWORD dst_unused:UNUSED_PAD src0_sel:BYTE_1 src1_sel:DWORD
	v_max_i16_sdwa v8, sext(v8), v34 dst_sel:DWORD dst_unused:UNUSED_PAD src0_sel:BYTE_0 src1_sel:DWORD
	v_max_i16_sdwa v9, sext(v9), v34 dst_sel:DWORD dst_unused:UNUSED_PAD src0_sel:BYTE_0 src1_sel:DWORD
	;; [unrolled: 1-line block ×4, first 2 shown]
	buffer_store_dword v8, off, s[0:3], 0 offset:336
	buffer_store_dword v11, off, s[0:3], 0 offset:348
	buffer_store_dword v10, off, s[0:3], 0 offset:344
	buffer_store_dword v9, off, s[0:3], 0 offset:340
	buffer_load_dword v8, v13, s[40:43], 0 offen
	v_add_u32_e32 v9, s11, v13
	v_cmp_gt_i32_e64 s[8:9], s24, v35
	s_waitcnt vmcnt(0)
	v_cndmask_b32_e64 v8, 0, v8, s[6:7]
	v_add_u16_e32 v10, v8, v14
	v_add_u16_sdwa v11, v8, v17 dst_sel:DWORD dst_unused:UNUSED_PAD src0_sel:BYTE_3 src1_sel:DWORD
	v_add_u16_sdwa v12, v8, v16 dst_sel:DWORD dst_unused:UNUSED_PAD src0_sel:WORD_1 src1_sel:DWORD
	v_add_u16_sdwa v8, v8, v15 dst_sel:DWORD dst_unused:UNUSED_PAD src0_sel:BYTE_1 src1_sel:DWORD
	v_max_i16_sdwa v10, sext(v10), v34 dst_sel:DWORD dst_unused:UNUSED_PAD src0_sel:BYTE_0 src1_sel:DWORD
	v_max_i16_sdwa v8, sext(v8), v34 dst_sel:DWORD dst_unused:UNUSED_PAD src0_sel:BYTE_0 src1_sel:DWORD
	;; [unrolled: 1-line block ×4, first 2 shown]
	buffer_store_dword v10, off, s[0:3], 0 offset:352
	buffer_store_dword v11, off, s[0:3], 0 offset:364
	;; [unrolled: 1-line block ×4, first 2 shown]
	buffer_load_dword v8, v9, s[40:43], 0 offen
	v_add_u32_e32 v10, 0x43, v35
	v_cmp_gt_i32_e64 s[6:7], s27, v10
	s_and_b64 s[4:5], s[6:7], s[4:5]
	v_add_u32_e32 v9, s10, v9
	s_and_b64 vcc, s[6:7], vcc
	s_waitcnt vmcnt(0)
	v_cndmask_b32_e64 v8, 0, v8, s[4:5]
	v_add_u16_e32 v0, v8, v0
	v_add_u16_sdwa v3, v8, v3 dst_sel:DWORD dst_unused:UNUSED_PAD src0_sel:BYTE_3 src1_sel:DWORD
	v_add_u16_sdwa v2, v8, v2 dst_sel:DWORD dst_unused:UNUSED_PAD src0_sel:WORD_1 src1_sel:DWORD
	v_add_u16_sdwa v1, v8, v1 dst_sel:DWORD dst_unused:UNUSED_PAD src0_sel:BYTE_1 src1_sel:DWORD
	v_max_i16_sdwa v0, sext(v0), v34 dst_sel:DWORD dst_unused:UNUSED_PAD src0_sel:BYTE_0 src1_sel:DWORD
	v_max_i16_sdwa v1, sext(v1), v34 dst_sel:DWORD dst_unused:UNUSED_PAD src0_sel:BYTE_0 src1_sel:DWORD
	;; [unrolled: 1-line block ×4, first 2 shown]
	buffer_store_dword v0, off, s[0:3], 0 offset:368
	buffer_store_dword v3, off, s[0:3], 0 offset:380
	;; [unrolled: 1-line block ×4, first 2 shown]
	buffer_load_dword v2, v9, s[40:43], 0 offen
	v_mul_lo_u32 v0, v35, s34
	v_cmp_gt_i32_e64 s[4:5], s33, v33
	v_mad_u64_u32 v[0:1], s[10:11], v33, s35, v[0:1]
	v_bfrev_b32_e32 v3, 1
	s_and_b64 s[10:11], s[8:9], s[4:5]
	v_lshlrev_b16_e32 v8, 8, v39
	v_lshlrev_b16_e32 v9, 8, v37
	v_cndmask_b32_e64 v1, v3, 0, s[10:11]
	v_or_b32_e32 v8, v40, v8
	v_or_b32_sdwa v9, v38, v9 dst_sel:WORD_1 dst_unused:UNUSED_PAD src0_sel:DWORD src1_sel:DWORD
	v_add_u32_e32 v1, v1, v0
	v_or_b32_sdwa v8, v8, v9 dst_sel:DWORD dst_unused:UNUSED_PAD src0_sel:WORD_0 src1_sel:DWORD
	s_lshl_b32 s11, s35, 6
	s_mov_b32 s10, 0xc0c0500
	s_waitcnt vmcnt(0)
	v_cndmask_b32_e32 v2, 0, v2, vcc
	v_add_u16_e32 v4, v2, v4
	v_add_u16_sdwa v7, v2, v7 dst_sel:DWORD dst_unused:UNUSED_PAD src0_sel:BYTE_3 src1_sel:DWORD
	v_add_u16_sdwa v6, v2, v6 dst_sel:DWORD dst_unused:UNUSED_PAD src0_sel:WORD_1 src1_sel:DWORD
	v_add_u16_sdwa v2, v2, v5 dst_sel:DWORD dst_unused:UNUSED_PAD src0_sel:BYTE_1 src1_sel:DWORD
	v_max_i16_sdwa v4, sext(v4), v34 dst_sel:DWORD dst_unused:UNUSED_PAD src0_sel:BYTE_0 src1_sel:DWORD
	v_max_i16_sdwa v2, sext(v2), v34 dst_sel:DWORD dst_unused:UNUSED_PAD src0_sel:BYTE_0 src1_sel:DWORD
	v_max_i16_sdwa v5, sext(v6), v34 dst_sel:DWORD dst_unused:UNUSED_PAD src0_sel:BYTE_0 src1_sel:DWORD
	v_max_i16_sdwa v6, sext(v7), v34 dst_sel:DWORD dst_unused:UNUSED_PAD src0_sel:BYTE_0 src1_sel:DWORD
	buffer_store_dword v4, off, s[0:3], 0 offset:384
	buffer_store_dword v6, off, s[0:3], 0 offset:396
	;; [unrolled: 1-line block ×4, first 2 shown]
	buffer_store_dword v8, v1, s[36:39], 0 offen
	buffer_load_dword v1, off, s[0:3], 0 offset:164
	s_nop 0
	buffer_load_dword v2, off, s[0:3], 0 offset:168
	buffer_load_dword v4, off, s[0:3], 0 offset:172
	;; [unrolled: 1-line block ×3, first 2 shown]
	v_cmp_gt_i32_e32 vcc, s33, v41
	s_and_b64 s[6:7], s[8:9], vcc
	v_add_u32_e32 v6, s11, v0
	v_cndmask_b32_e64 v7, v3, 0, s[6:7]
	v_add_u32_e32 v7, v7, v6
	v_cmp_gt_i32_e64 s[6:7], s24, v42
	s_and_b64 s[8:9], s[6:7], vcc
	v_add_u32_e32 v6, s34, v6
	s_and_b64 s[6:7], s[6:7], s[4:5]
	v_add_u32_e32 v0, s34, v0
	s_waitcnt vmcnt(3)
	v_lshlrev_b32_e32 v1, 8, v1
	s_waitcnt vmcnt(2)
	v_lshlrev_b32_e32 v2, 16, v2
	;; [unrolled: 2-line block ×3, first 2 shown]
	v_and_b32_e32 v2, 0xff0000, v2
	s_waitcnt vmcnt(0)
	v_perm_b32 v1, v1, v5, s10
	v_or3_b32 v1, v1, v2, v4
	buffer_store_dword v1, v7, s[36:39], 0 offen
	buffer_load_dword v1, off, s[0:3], 0 offset:196
	s_nop 0
	buffer_load_dword v2, off, s[0:3], 0 offset:200
	buffer_load_dword v4, off, s[0:3], 0 offset:204
	;; [unrolled: 1-line block ×3, first 2 shown]
	v_cndmask_b32_e64 v7, v3, 0, s[8:9]
	v_add_u32_e32 v7, v7, v6
	v_add_u32_e32 v6, s34, v6
	s_waitcnt vmcnt(3)
	v_lshlrev_b32_e32 v1, 8, v1
	s_waitcnt vmcnt(2)
	v_lshlrev_b32_e32 v2, 16, v2
	;; [unrolled: 2-line block ×3, first 2 shown]
	v_and_b32_e32 v2, 0xff0000, v2
	s_waitcnt vmcnt(0)
	v_perm_b32 v1, v1, v5, s10
	v_or3_b32 v1, v1, v2, v4
	buffer_store_dword v1, v7, s[36:39], 0 offen
	buffer_load_dword v1, off, s[0:3], 0 offset:180
	s_nop 0
	buffer_load_dword v2, off, s[0:3], 0 offset:184
	buffer_load_dword v4, off, s[0:3], 0 offset:188
	;; [unrolled: 1-line block ×3, first 2 shown]
	v_cndmask_b32_e64 v7, v3, 0, s[6:7]
	v_add_u32_e32 v7, v0, v7
	v_cmp_gt_i32_e64 s[6:7], s24, v43
	s_and_b64 s[8:9], s[6:7], s[4:5]
	s_and_b64 s[6:7], s[6:7], vcc
	s_waitcnt vmcnt(3)
	v_lshlrev_b32_e32 v1, 8, v1
	s_waitcnt vmcnt(2)
	v_lshlrev_b32_e32 v2, 16, v2
	s_waitcnt vmcnt(1)
	v_lshlrev_b32_e32 v4, 24, v4
	v_and_b32_e32 v2, 0xff0000, v2
	s_waitcnt vmcnt(0)
	v_perm_b32 v1, v1, v5, s10
	v_or3_b32 v1, v1, v2, v4
	buffer_store_dword v1, v7, s[36:39], 0 offen
	buffer_load_dword v1, off, s[0:3], 0 offset:212
	s_nop 0
	buffer_load_dword v2, off, s[0:3], 0 offset:216
	buffer_load_dword v4, off, s[0:3], 0 offset:220
	;; [unrolled: 1-line block ×3, first 2 shown]
	v_cndmask_b32_e64 v7, v3, 0, s[8:9]
	v_add3_u32 v0, v7, s34, v0
	s_waitcnt vmcnt(3)
	v_lshlrev_b32_e32 v1, 8, v1
	s_waitcnt vmcnt(2)
	v_lshlrev_b32_e32 v2, 16, v2
	;; [unrolled: 2-line block ×3, first 2 shown]
	v_and_b32_e32 v2, 0xff0000, v2
	s_waitcnt vmcnt(0)
	v_perm_b32 v1, v1, v5, s10
	v_or3_b32 v1, v1, v2, v4
	buffer_store_dword v1, v0, s[36:39], 0 offen
	buffer_load_dword v0, off, s[0:3], 0 offset:228
	s_nop 0
	buffer_load_dword v1, off, s[0:3], 0 offset:232
	buffer_load_dword v2, off, s[0:3], 0 offset:236
	;; [unrolled: 1-line block ×3, first 2 shown]
	v_cndmask_b32_e64 v5, v3, 0, s[6:7]
	v_add_u32_e32 v5, v6, v5
	v_cmp_gt_i32_e64 s[6:7], s24, v44
	s_and_b64 s[8:9], s[6:7], vcc
	v_add_u32_e32 v6, s34, v6
	s_and_b64 s[6:7], s[6:7], s[4:5]
	s_waitcnt vmcnt(3)
	v_lshlrev_b32_e32 v0, 8, v0
	s_waitcnt vmcnt(2)
	v_lshlrev_b32_e32 v1, 16, v1
	;; [unrolled: 2-line block ×3, first 2 shown]
	v_and_b32_e32 v1, 0xff0000, v1
	s_waitcnt vmcnt(0)
	v_perm_b32 v0, v0, v4, s10
	v_or3_b32 v0, v0, v1, v2
	buffer_store_dword v0, v5, s[36:39], 0 offen
	buffer_load_dword v0, off, s[0:3], 0 offset:260
	s_nop 0
	buffer_load_dword v1, off, s[0:3], 0 offset:264
	buffer_load_dword v2, off, s[0:3], 0 offset:268
	;; [unrolled: 1-line block ×3, first 2 shown]
	v_cndmask_b32_e64 v5, v3, 0, s[8:9]
	v_add_u32_e32 v5, v6, v5
	v_subrev_u32_e32 v6, s11, v6
	s_waitcnt vmcnt(3)
	v_lshlrev_b32_e32 v0, 8, v0
	s_waitcnt vmcnt(2)
	v_lshlrev_b32_e32 v1, 16, v1
	;; [unrolled: 2-line block ×3, first 2 shown]
	v_and_b32_e32 v1, 0xff0000, v1
	s_waitcnt vmcnt(0)
	v_perm_b32 v0, v0, v4, s10
	v_or3_b32 v0, v0, v1, v2
	buffer_store_dword v0, v5, s[36:39], 0 offen
	buffer_load_dword v0, off, s[0:3], 0 offset:244
	s_nop 0
	buffer_load_dword v1, off, s[0:3], 0 offset:248
	buffer_load_dword v2, off, s[0:3], 0 offset:252
	buffer_load_dword v4, off, s[0:3], 0 offset:240
	v_cndmask_b32_e64 v5, v3, 0, s[6:7]
	v_add_u32_e32 v5, v6, v5
	v_cmp_gt_i32_e64 s[6:7], s24, v10
	s_and_b64 s[8:9], s[6:7], s[4:5]
	s_and_b64 s[6:7], s[6:7], vcc
	s_waitcnt vmcnt(3)
	v_lshlrev_b32_e32 v0, 8, v0
	s_waitcnt vmcnt(2)
	v_lshlrev_b32_e32 v1, 16, v1
	;; [unrolled: 2-line block ×3, first 2 shown]
	v_and_b32_e32 v1, 0xff0000, v1
	s_waitcnt vmcnt(0)
	v_perm_b32 v0, v0, v4, s10
	v_or3_b32 v0, v0, v1, v2
	buffer_store_dword v0, v5, s[36:39], 0 offen
	buffer_load_dword v0, off, s[0:3], 0 offset:372
	s_nop 0
	buffer_load_dword v1, off, s[0:3], 0 offset:376
	buffer_load_dword v2, off, s[0:3], 0 offset:380
	;; [unrolled: 1-line block ×3, first 2 shown]
	v_cndmask_b32_e64 v5, v3, 0, s[8:9]
	v_add3_u32 v5, v5, s12, v6
	s_add_i32 s8, s35, s34
	v_lshl_add_u32 v6, s8, 6, v6
	s_waitcnt vmcnt(3)
	v_lshlrev_b32_e32 v0, 8, v0
	s_waitcnt vmcnt(2)
	v_lshlrev_b32_e32 v1, 16, v1
	;; [unrolled: 2-line block ×3, first 2 shown]
	v_and_b32_e32 v1, 0xff0000, v1
	s_waitcnt vmcnt(0)
	v_perm_b32 v0, v0, v4, s10
	v_or3_b32 v0, v0, v1, v2
	buffer_store_dword v0, v5, s[36:39], 0 offen
	buffer_load_dword v0, off, s[0:3], 0 offset:388
	s_nop 0
	buffer_load_dword v1, off, s[0:3], 0 offset:392
	buffer_load_dword v2, off, s[0:3], 0 offset:396
	;; [unrolled: 1-line block ×3, first 2 shown]
	v_cndmask_b32_e64 v5, v3, 0, s[6:7]
	v_add_u32_e32 v5, v6, v5
	v_cmp_ge_i32_e64 s[6:7], s24, v10
	s_and_b64 s[6:7], s[6:7], vcc
	v_subrev_u32_e32 v6, s34, v6
	s_waitcnt vmcnt(3)
	v_lshlrev_b32_e32 v0, 8, v0
	s_waitcnt vmcnt(2)
	v_lshlrev_b32_e32 v1, 16, v1
	;; [unrolled: 2-line block ×3, first 2 shown]
	v_and_b32_e32 v1, 0xff0000, v1
	s_waitcnt vmcnt(0)
	v_perm_b32 v0, v0, v4, s10
	v_or3_b32 v0, v0, v1, v2
	buffer_store_dword v0, v5, s[36:39], 0 offen
	buffer_load_dword v0, off, s[0:3], 0 offset:356
	s_nop 0
	buffer_load_dword v1, off, s[0:3], 0 offset:360
	buffer_load_dword v2, off, s[0:3], 0 offset:364
	;; [unrolled: 1-line block ×3, first 2 shown]
	v_cndmask_b32_e64 v5, v3, 0, s[6:7]
	v_add_u32_e32 v5, v6, v5
	v_cmp_gt_i32_e64 s[6:7], s24, v18
	s_and_b64 s[6:7], s[6:7], s[4:5]
	v_subrev_u32_e32 v6, s11, v6
	s_waitcnt vmcnt(3)
	v_lshlrev_b32_e32 v0, 8, v0
	s_waitcnt vmcnt(2)
	v_lshlrev_b32_e32 v1, 16, v1
	;; [unrolled: 2-line block ×3, first 2 shown]
	v_and_b32_e32 v1, 0xff0000, v1
	s_waitcnt vmcnt(0)
	v_perm_b32 v0, v0, v4, s10
	v_or3_b32 v0, v0, v1, v2
	buffer_store_dword v0, v5, s[36:39], 0 offen
	buffer_load_dword v0, off, s[0:3], 0 offset:340
	s_nop 0
	buffer_load_dword v1, off, s[0:3], 0 offset:344
	buffer_load_dword v2, off, s[0:3], 0 offset:348
	;; [unrolled: 1-line block ×3, first 2 shown]
	v_cndmask_b32_e64 v5, v3, 0, s[6:7]
	v_add_u32_e32 v5, v6, v5
	v_cmp_ge_i32_e64 s[6:7], s24, v18
	s_and_b64 s[6:7], s[6:7], s[4:5]
	v_subrev_u32_e32 v6, s34, v6
	s_waitcnt vmcnt(3)
	v_lshlrev_b32_e32 v0, 8, v0
	s_waitcnt vmcnt(2)
	v_lshlrev_b32_e32 v1, 16, v1
	;; [unrolled: 2-line block ×3, first 2 shown]
	v_and_b32_e32 v1, 0xff0000, v1
	s_waitcnt vmcnt(0)
	v_perm_b32 v0, v0, v4, s10
	v_or3_b32 v0, v0, v1, v2
	buffer_store_dword v0, v5, s[36:39], 0 offen
	buffer_load_dword v0, off, s[0:3], 0 offset:308
	s_nop 0
	buffer_load_dword v1, off, s[0:3], 0 offset:312
	buffer_load_dword v2, off, s[0:3], 0 offset:316
	;; [unrolled: 1-line block ×3, first 2 shown]
	v_cndmask_b32_e64 v5, v3, 0, s[6:7]
	v_add_u32_e32 v5, v6, v5
	v_cmp_gt_i32_e64 s[6:7], s24, v24
	s_and_b64 s[6:7], s[6:7], vcc
	v_add_u32_e32 v6, s11, v6
	s_waitcnt vmcnt(3)
	v_lshlrev_b32_e32 v0, 8, v0
	s_waitcnt vmcnt(2)
	v_lshlrev_b32_e32 v1, 16, v1
	;; [unrolled: 2-line block ×3, first 2 shown]
	v_and_b32_e32 v1, 0xff0000, v1
	s_waitcnt vmcnt(0)
	v_perm_b32 v0, v0, v4, s10
	v_or3_b32 v0, v0, v1, v2
	buffer_store_dword v0, v5, s[36:39], 0 offen
	buffer_load_dword v0, off, s[0:3], 0 offset:324
	s_nop 0
	buffer_load_dword v1, off, s[0:3], 0 offset:328
	buffer_load_dword v2, off, s[0:3], 0 offset:332
	;; [unrolled: 1-line block ×3, first 2 shown]
	v_cndmask_b32_e64 v5, v3, 0, s[6:7]
	v_add_u32_e32 v5, v6, v5
	v_cmp_ge_i32_e64 s[6:7], s24, v24
	s_and_b64 s[6:7], s[6:7], vcc
	v_subrev_u32_e32 v6, s34, v6
	v_cmp_gt_i32_e32 vcc, s24, v19
	s_and_b64 s[4:5], vcc, s[4:5]
	s_waitcnt vmcnt(3)
	v_lshlrev_b32_e32 v0, 8, v0
	s_waitcnt vmcnt(2)
	v_lshlrev_b32_e32 v1, 16, v1
	s_waitcnt vmcnt(1)
	v_lshlrev_b32_e32 v2, 24, v2
	v_and_b32_e32 v1, 0xff0000, v1
	s_waitcnt vmcnt(0)
	v_perm_b32 v0, v0, v4, s10
	v_or3_b32 v0, v0, v1, v2
	buffer_store_dword v0, v5, s[36:39], 0 offen
	buffer_load_dword v0, off, s[0:3], 0 offset:292
	s_nop 0
	buffer_load_dword v1, off, s[0:3], 0 offset:296
	buffer_load_dword v2, off, s[0:3], 0 offset:300
	;; [unrolled: 1-line block ×3, first 2 shown]
	v_cndmask_b32_e64 v5, v3, 0, s[6:7]
	v_add_u32_e32 v5, v6, v5
	v_cndmask_b32_e64 v3, v3, 0, s[4:5]
	v_subrev_u32_e32 v3, s11, v3
	s_waitcnt vmcnt(3)
	v_lshlrev_b32_e32 v0, 8, v0
	s_waitcnt vmcnt(2)
	v_lshlrev_b32_e32 v1, 16, v1
	;; [unrolled: 2-line block ×3, first 2 shown]
	v_and_b32_e32 v1, 0xff0000, v1
	s_waitcnt vmcnt(0)
	v_perm_b32 v0, v0, v4, s10
	v_or3_b32 v0, v0, v1, v2
	buffer_store_dword v0, v5, s[36:39], 0 offen
	buffer_load_dword v0, off, s[0:3], 0 offset:276
	s_nop 0
	buffer_load_dword v1, off, s[0:3], 0 offset:280
	buffer_load_dword v2, off, s[0:3], 0 offset:284
	;; [unrolled: 1-line block ×3, first 2 shown]
	s_waitcnt vmcnt(3)
	v_lshlrev_b32_e32 v0, 8, v0
	s_waitcnt vmcnt(2)
	v_lshlrev_b32_e32 v1, 16, v1
	;; [unrolled: 2-line block ×3, first 2 shown]
	v_and_b32_e32 v1, 0xff0000, v1
	s_waitcnt vmcnt(0)
	v_perm_b32 v0, v0, v4, s10
	v_or3_b32 v0, v0, v1, v2
	v_add_u32_e32 v1, v3, v6
	buffer_store_dword v0, v1, s[36:39], 0 offen
	s_endpgm
	.section	.rodata,"a",@progbits
	.p2align	6, 0x0
	.amdhsa_kernel _ZN2ck16tensor_operation6device12_GLOBAL__N_137kernel_grouped_conv_fwd_dl_multiple_dINS_32GridwiseGemmDlMultipleD_km_kn_mnILi256EaiNS_5TupleIJaEEEaNS0_12element_wise11PassThroughES8_NS7_7AddReluELNS_25InMemoryDataOperationEnumE0ENS_16TensorDescriptorINS5_IJNS_5EmbedINS5_IJiiiEEESD_Lb0EEENS_11PassThroughIiEENS_3PadIiiiLb0EEESG_SG_NSC_INS5_IJiiEEESJ_Lb0EEESG_NS_23Merge_v2_magic_divisionISJ_EESM_NS_8RightPadIiiLb0EEESO_NS_7UnMergeISJ_Lb0EEESG_EEENS5_IJNS_8SequenceIJLi0EEEENSS_IJLi1EEEENSS_IJLi2EEEENSS_IJLi3EEEENSS_IJLi4EEEENSS_IJLi5EEEENSS_IJLi6EEEENSS_IJLi7ELi9EEEENSS_IJLi8ELi10EEEENSS_IJLi11EEEENSS_IJLi12EEEENSS_IJLi14EEEENSS_IJLi13EEEEEEENS5_IJNSS_IJLi1ELi2ELi3EEEESX_SY_SZ_NSS_IJLi7EEEENSS_IJLi8ELi9EEEENSS_IJLi10EEEES12_S13_S15_S14_NSS_IJLi15ELi16EEEENSS_IJLi17EEEEEEENSS_IJLi15ELi17ELi16EEEElEENSB_INS5_IJSQ_SO_SO_SQ_SG_EEENS5_IJST_SU_SV_SX_SW_EEENS5_IJNSS_IJLi1ELi2EEEESW_SX_NSS_IJLi5ELi6EEEES18_EEENSS_IJLi5ELi7ELi6EEEElEENSB_INS5_IJSK_SO_SO_EEENS5_IJST_SU_SV_EEENS5_IJS1I_SW_SX_EEENSS_IJLi3ELi4EEEElEELi128ELi128ELi16ELi4ELi4ELi4ELi1ENSS_IJLi8ELi2EEEES1S_NSS_IJLi8ELi1ELi1ELi4EEEENSS_IJLi2ELi1ELi128ELi1EEEENSS_IJLi1ELi2ELi0ELi3EEEES1V_NSS_IJLi4ELi1ELi1ELi4EEEES1V_NSS_IJLi1ELi1ELi1ELi4EEEES1T_S1U_S1V_S1V_S1W_S1V_S1X_NSS_IJLi0ELi1ELi2ELi3ELi4ELi5EEEELi5ELi4EEEaNS5_IJPKaEEEaS8_S8_S9_NSB_INS5_IJSE_SG_SI_SG_SG_SK_SG_SM_SM_SO_SO_SQ_SG_SG_NSP_INS5_IJiNS_17integral_constantIiLi128EEEEEELb0EEENSF_INS23_IiLi4EEEEEEEENS5_IJST_SU_SV_SW_SX_SY_SZ_S10_S11_S12_S13_S14_S15_NSS_IJLi15EEEES1C_NSS_IJLi16EEEEEEENS5_IJS17_SX_SY_SZ_S18_S19_S1A_S12_S13_S15_S14_S1B_S1C_NSS_IJLi18EEEENSS_IJLi19ELi20EEEENSS_IJLi21EEEEEEENSS_IJLi18ELi19ELi20ELi21EEEElEENSB_INS5_IJSQ_SO_SO_SQ_SG_SG_S26_S28_EEENS5_IJST_SU_SV_SX_SW_SY_S18_SZ_EEENS5_IJS1I_SW_SX_S1J_S18_NSS_IJLi8EEEENSS_IJLi9ELi10EEEES12_EEENSS_IJLi8ELi9ELi10ELi11EEEElEENS5_IJNSB_INS5_IJSK_SO_SO_NSP_INS5_IJiNS23_IiLi2EEENS23_IiLi64EEEEEELb0EEES2T_EEENS5_IJST_SU_SV_SW_SX_EEENS5_IJS1I_SW_SX_NSS_IJLi5ELi6ELi7EEEENSS_IJLi8ELi9ELi10EEEEEEENSS_IJLi5ELi6ELi7ELi8ELi9ELi10EEEElEEEEES30_NS_31BlockToCTileMap_M00_N00_M01_N01ILi128ELi128ES1R_Lb0EEENS1_30ComputePtrOffsetOfStridedBatchILi1ELi1ELi1EvEELb1ELb0EEEvPKT0_S38_T1_PT2_T3_T4_T5_iT6_T7_T8_T9_T10_T11_
		.amdhsa_group_segment_fixed_size 32768
		.amdhsa_private_segment_fixed_size 480
		.amdhsa_kernarg_size 904
		.amdhsa_user_sgpr_count 8
		.amdhsa_user_sgpr_private_segment_buffer 1
		.amdhsa_user_sgpr_dispatch_ptr 0
		.amdhsa_user_sgpr_queue_ptr 0
		.amdhsa_user_sgpr_kernarg_segment_ptr 1
		.amdhsa_user_sgpr_dispatch_id 0
		.amdhsa_user_sgpr_flat_scratch_init 1
		.amdhsa_user_sgpr_kernarg_preload_length 0
		.amdhsa_user_sgpr_kernarg_preload_offset 0
		.amdhsa_user_sgpr_private_segment_size 0
		.amdhsa_uses_dynamic_stack 0
		.amdhsa_system_sgpr_private_segment_wavefront_offset 1
		.amdhsa_system_sgpr_workgroup_id_x 1
		.amdhsa_system_sgpr_workgroup_id_y 0
		.amdhsa_system_sgpr_workgroup_id_z 0
		.amdhsa_system_sgpr_workgroup_info 0
		.amdhsa_system_vgpr_workitem_id 0
		.amdhsa_next_free_vgpr 106
		.amdhsa_next_free_sgpr 90
		.amdhsa_accum_offset 108
		.amdhsa_reserve_vcc 1
		.amdhsa_reserve_flat_scratch 1
		.amdhsa_float_round_mode_32 0
		.amdhsa_float_round_mode_16_64 0
		.amdhsa_float_denorm_mode_32 3
		.amdhsa_float_denorm_mode_16_64 3
		.amdhsa_dx10_clamp 1
		.amdhsa_ieee_mode 1
		.amdhsa_fp16_overflow 0
		.amdhsa_tg_split 0
		.amdhsa_exception_fp_ieee_invalid_op 0
		.amdhsa_exception_fp_denorm_src 0
		.amdhsa_exception_fp_ieee_div_zero 0
		.amdhsa_exception_fp_ieee_overflow 0
		.amdhsa_exception_fp_ieee_underflow 0
		.amdhsa_exception_fp_ieee_inexact 0
		.amdhsa_exception_int_div_zero 0
	.end_amdhsa_kernel
	.section	.text._ZN2ck16tensor_operation6device12_GLOBAL__N_137kernel_grouped_conv_fwd_dl_multiple_dINS_32GridwiseGemmDlMultipleD_km_kn_mnILi256EaiNS_5TupleIJaEEEaNS0_12element_wise11PassThroughES8_NS7_7AddReluELNS_25InMemoryDataOperationEnumE0ENS_16TensorDescriptorINS5_IJNS_5EmbedINS5_IJiiiEEESD_Lb0EEENS_11PassThroughIiEENS_3PadIiiiLb0EEESG_SG_NSC_INS5_IJiiEEESJ_Lb0EEESG_NS_23Merge_v2_magic_divisionISJ_EESM_NS_8RightPadIiiLb0EEESO_NS_7UnMergeISJ_Lb0EEESG_EEENS5_IJNS_8SequenceIJLi0EEEENSS_IJLi1EEEENSS_IJLi2EEEENSS_IJLi3EEEENSS_IJLi4EEEENSS_IJLi5EEEENSS_IJLi6EEEENSS_IJLi7ELi9EEEENSS_IJLi8ELi10EEEENSS_IJLi11EEEENSS_IJLi12EEEENSS_IJLi14EEEENSS_IJLi13EEEEEEENS5_IJNSS_IJLi1ELi2ELi3EEEESX_SY_SZ_NSS_IJLi7EEEENSS_IJLi8ELi9EEEENSS_IJLi10EEEES12_S13_S15_S14_NSS_IJLi15ELi16EEEENSS_IJLi17EEEEEEENSS_IJLi15ELi17ELi16EEEElEENSB_INS5_IJSQ_SO_SO_SQ_SG_EEENS5_IJST_SU_SV_SX_SW_EEENS5_IJNSS_IJLi1ELi2EEEESW_SX_NSS_IJLi5ELi6EEEES18_EEENSS_IJLi5ELi7ELi6EEEElEENSB_INS5_IJSK_SO_SO_EEENS5_IJST_SU_SV_EEENS5_IJS1I_SW_SX_EEENSS_IJLi3ELi4EEEElEELi128ELi128ELi16ELi4ELi4ELi4ELi1ENSS_IJLi8ELi2EEEES1S_NSS_IJLi8ELi1ELi1ELi4EEEENSS_IJLi2ELi1ELi128ELi1EEEENSS_IJLi1ELi2ELi0ELi3EEEES1V_NSS_IJLi4ELi1ELi1ELi4EEEES1V_NSS_IJLi1ELi1ELi1ELi4EEEES1T_S1U_S1V_S1V_S1W_S1V_S1X_NSS_IJLi0ELi1ELi2ELi3ELi4ELi5EEEELi5ELi4EEEaNS5_IJPKaEEEaS8_S8_S9_NSB_INS5_IJSE_SG_SI_SG_SG_SK_SG_SM_SM_SO_SO_SQ_SG_SG_NSP_INS5_IJiNS_17integral_constantIiLi128EEEEEELb0EEENSF_INS23_IiLi4EEEEEEEENS5_IJST_SU_SV_SW_SX_SY_SZ_S10_S11_S12_S13_S14_S15_NSS_IJLi15EEEES1C_NSS_IJLi16EEEEEEENS5_IJS17_SX_SY_SZ_S18_S19_S1A_S12_S13_S15_S14_S1B_S1C_NSS_IJLi18EEEENSS_IJLi19ELi20EEEENSS_IJLi21EEEEEEENSS_IJLi18ELi19ELi20ELi21EEEElEENSB_INS5_IJSQ_SO_SO_SQ_SG_SG_S26_S28_EEENS5_IJST_SU_SV_SX_SW_SY_S18_SZ_EEENS5_IJS1I_SW_SX_S1J_S18_NSS_IJLi8EEEENSS_IJLi9ELi10EEEES12_EEENSS_IJLi8ELi9ELi10ELi11EEEElEENS5_IJNSB_INS5_IJSK_SO_SO_NSP_INS5_IJiNS23_IiLi2EEENS23_IiLi64EEEEEELb0EEES2T_EEENS5_IJST_SU_SV_SW_SX_EEENS5_IJS1I_SW_SX_NSS_IJLi5ELi6ELi7EEEENSS_IJLi8ELi9ELi10EEEEEEENSS_IJLi5ELi6ELi7ELi8ELi9ELi10EEEElEEEEES30_NS_31BlockToCTileMap_M00_N00_M01_N01ILi128ELi128ES1R_Lb0EEENS1_30ComputePtrOffsetOfStridedBatchILi1ELi1ELi1EvEELb1ELb0EEEvPKT0_S38_T1_PT2_T3_T4_T5_iT6_T7_T8_T9_T10_T11_,"axG",@progbits,_ZN2ck16tensor_operation6device12_GLOBAL__N_137kernel_grouped_conv_fwd_dl_multiple_dINS_32GridwiseGemmDlMultipleD_km_kn_mnILi256EaiNS_5TupleIJaEEEaNS0_12element_wise11PassThroughES8_NS7_7AddReluELNS_25InMemoryDataOperationEnumE0ENS_16TensorDescriptorINS5_IJNS_5EmbedINS5_IJiiiEEESD_Lb0EEENS_11PassThroughIiEENS_3PadIiiiLb0EEESG_SG_NSC_INS5_IJiiEEESJ_Lb0EEESG_NS_23Merge_v2_magic_divisionISJ_EESM_NS_8RightPadIiiLb0EEESO_NS_7UnMergeISJ_Lb0EEESG_EEENS5_IJNS_8SequenceIJLi0EEEENSS_IJLi1EEEENSS_IJLi2EEEENSS_IJLi3EEEENSS_IJLi4EEEENSS_IJLi5EEEENSS_IJLi6EEEENSS_IJLi7ELi9EEEENSS_IJLi8ELi10EEEENSS_IJLi11EEEENSS_IJLi12EEEENSS_IJLi14EEEENSS_IJLi13EEEEEEENS5_IJNSS_IJLi1ELi2ELi3EEEESX_SY_SZ_NSS_IJLi7EEEENSS_IJLi8ELi9EEEENSS_IJLi10EEEES12_S13_S15_S14_NSS_IJLi15ELi16EEEENSS_IJLi17EEEEEEENSS_IJLi15ELi17ELi16EEEElEENSB_INS5_IJSQ_SO_SO_SQ_SG_EEENS5_IJST_SU_SV_SX_SW_EEENS5_IJNSS_IJLi1ELi2EEEESW_SX_NSS_IJLi5ELi6EEEES18_EEENSS_IJLi5ELi7ELi6EEEElEENSB_INS5_IJSK_SO_SO_EEENS5_IJST_SU_SV_EEENS5_IJS1I_SW_SX_EEENSS_IJLi3ELi4EEEElEELi128ELi128ELi16ELi4ELi4ELi4ELi1ENSS_IJLi8ELi2EEEES1S_NSS_IJLi8ELi1ELi1ELi4EEEENSS_IJLi2ELi1ELi128ELi1EEEENSS_IJLi1ELi2ELi0ELi3EEEES1V_NSS_IJLi4ELi1ELi1ELi4EEEES1V_NSS_IJLi1ELi1ELi1ELi4EEEES1T_S1U_S1V_S1V_S1W_S1V_S1X_NSS_IJLi0ELi1ELi2ELi3ELi4ELi5EEEELi5ELi4EEEaNS5_IJPKaEEEaS8_S8_S9_NSB_INS5_IJSE_SG_SI_SG_SG_SK_SG_SM_SM_SO_SO_SQ_SG_SG_NSP_INS5_IJiNS_17integral_constantIiLi128EEEEEELb0EEENSF_INS23_IiLi4EEEEEEEENS5_IJST_SU_SV_SW_SX_SY_SZ_S10_S11_S12_S13_S14_S15_NSS_IJLi15EEEES1C_NSS_IJLi16EEEEEEENS5_IJS17_SX_SY_SZ_S18_S19_S1A_S12_S13_S15_S14_S1B_S1C_NSS_IJLi18EEEENSS_IJLi19ELi20EEEENSS_IJLi21EEEEEEENSS_IJLi18ELi19ELi20ELi21EEEElEENSB_INS5_IJSQ_SO_SO_SQ_SG_SG_S26_S28_EEENS5_IJST_SU_SV_SX_SW_SY_S18_SZ_EEENS5_IJS1I_SW_SX_S1J_S18_NSS_IJLi8EEEENSS_IJLi9ELi10EEEES12_EEENSS_IJLi8ELi9ELi10ELi11EEEElEENS5_IJNSB_INS5_IJSK_SO_SO_NSP_INS5_IJiNS23_IiLi2EEENS23_IiLi64EEEEEELb0EEES2T_EEENS5_IJST_SU_SV_SW_SX_EEENS5_IJS1I_SW_SX_NSS_IJLi5ELi6ELi7EEEENSS_IJLi8ELi9ELi10EEEEEEENSS_IJLi5ELi6ELi7ELi8ELi9ELi10EEEElEEEEES30_NS_31BlockToCTileMap_M00_N00_M01_N01ILi128ELi128ES1R_Lb0EEENS1_30ComputePtrOffsetOfStridedBatchILi1ELi1ELi1EvEELb1ELb0EEEvPKT0_S38_T1_PT2_T3_T4_T5_iT6_T7_T8_T9_T10_T11_,comdat
.Lfunc_end3:
	.size	_ZN2ck16tensor_operation6device12_GLOBAL__N_137kernel_grouped_conv_fwd_dl_multiple_dINS_32GridwiseGemmDlMultipleD_km_kn_mnILi256EaiNS_5TupleIJaEEEaNS0_12element_wise11PassThroughES8_NS7_7AddReluELNS_25InMemoryDataOperationEnumE0ENS_16TensorDescriptorINS5_IJNS_5EmbedINS5_IJiiiEEESD_Lb0EEENS_11PassThroughIiEENS_3PadIiiiLb0EEESG_SG_NSC_INS5_IJiiEEESJ_Lb0EEESG_NS_23Merge_v2_magic_divisionISJ_EESM_NS_8RightPadIiiLb0EEESO_NS_7UnMergeISJ_Lb0EEESG_EEENS5_IJNS_8SequenceIJLi0EEEENSS_IJLi1EEEENSS_IJLi2EEEENSS_IJLi3EEEENSS_IJLi4EEEENSS_IJLi5EEEENSS_IJLi6EEEENSS_IJLi7ELi9EEEENSS_IJLi8ELi10EEEENSS_IJLi11EEEENSS_IJLi12EEEENSS_IJLi14EEEENSS_IJLi13EEEEEEENS5_IJNSS_IJLi1ELi2ELi3EEEESX_SY_SZ_NSS_IJLi7EEEENSS_IJLi8ELi9EEEENSS_IJLi10EEEES12_S13_S15_S14_NSS_IJLi15ELi16EEEENSS_IJLi17EEEEEEENSS_IJLi15ELi17ELi16EEEElEENSB_INS5_IJSQ_SO_SO_SQ_SG_EEENS5_IJST_SU_SV_SX_SW_EEENS5_IJNSS_IJLi1ELi2EEEESW_SX_NSS_IJLi5ELi6EEEES18_EEENSS_IJLi5ELi7ELi6EEEElEENSB_INS5_IJSK_SO_SO_EEENS5_IJST_SU_SV_EEENS5_IJS1I_SW_SX_EEENSS_IJLi3ELi4EEEElEELi128ELi128ELi16ELi4ELi4ELi4ELi1ENSS_IJLi8ELi2EEEES1S_NSS_IJLi8ELi1ELi1ELi4EEEENSS_IJLi2ELi1ELi128ELi1EEEENSS_IJLi1ELi2ELi0ELi3EEEES1V_NSS_IJLi4ELi1ELi1ELi4EEEES1V_NSS_IJLi1ELi1ELi1ELi4EEEES1T_S1U_S1V_S1V_S1W_S1V_S1X_NSS_IJLi0ELi1ELi2ELi3ELi4ELi5EEEELi5ELi4EEEaNS5_IJPKaEEEaS8_S8_S9_NSB_INS5_IJSE_SG_SI_SG_SG_SK_SG_SM_SM_SO_SO_SQ_SG_SG_NSP_INS5_IJiNS_17integral_constantIiLi128EEEEEELb0EEENSF_INS23_IiLi4EEEEEEEENS5_IJST_SU_SV_SW_SX_SY_SZ_S10_S11_S12_S13_S14_S15_NSS_IJLi15EEEES1C_NSS_IJLi16EEEEEEENS5_IJS17_SX_SY_SZ_S18_S19_S1A_S12_S13_S15_S14_S1B_S1C_NSS_IJLi18EEEENSS_IJLi19ELi20EEEENSS_IJLi21EEEEEEENSS_IJLi18ELi19ELi20ELi21EEEElEENSB_INS5_IJSQ_SO_SO_SQ_SG_SG_S26_S28_EEENS5_IJST_SU_SV_SX_SW_SY_S18_SZ_EEENS5_IJS1I_SW_SX_S1J_S18_NSS_IJLi8EEEENSS_IJLi9ELi10EEEES12_EEENSS_IJLi8ELi9ELi10ELi11EEEElEENS5_IJNSB_INS5_IJSK_SO_SO_NSP_INS5_IJiNS23_IiLi2EEENS23_IiLi64EEEEEELb0EEES2T_EEENS5_IJST_SU_SV_SW_SX_EEENS5_IJS1I_SW_SX_NSS_IJLi5ELi6ELi7EEEENSS_IJLi8ELi9ELi10EEEEEEENSS_IJLi5ELi6ELi7ELi8ELi9ELi10EEEElEEEEES30_NS_31BlockToCTileMap_M00_N00_M01_N01ILi128ELi128ES1R_Lb0EEENS1_30ComputePtrOffsetOfStridedBatchILi1ELi1ELi1EvEELb1ELb0EEEvPKT0_S38_T1_PT2_T3_T4_T5_iT6_T7_T8_T9_T10_T11_, .Lfunc_end3-_ZN2ck16tensor_operation6device12_GLOBAL__N_137kernel_grouped_conv_fwd_dl_multiple_dINS_32GridwiseGemmDlMultipleD_km_kn_mnILi256EaiNS_5TupleIJaEEEaNS0_12element_wise11PassThroughES8_NS7_7AddReluELNS_25InMemoryDataOperationEnumE0ENS_16TensorDescriptorINS5_IJNS_5EmbedINS5_IJiiiEEESD_Lb0EEENS_11PassThroughIiEENS_3PadIiiiLb0EEESG_SG_NSC_INS5_IJiiEEESJ_Lb0EEESG_NS_23Merge_v2_magic_divisionISJ_EESM_NS_8RightPadIiiLb0EEESO_NS_7UnMergeISJ_Lb0EEESG_EEENS5_IJNS_8SequenceIJLi0EEEENSS_IJLi1EEEENSS_IJLi2EEEENSS_IJLi3EEEENSS_IJLi4EEEENSS_IJLi5EEEENSS_IJLi6EEEENSS_IJLi7ELi9EEEENSS_IJLi8ELi10EEEENSS_IJLi11EEEENSS_IJLi12EEEENSS_IJLi14EEEENSS_IJLi13EEEEEEENS5_IJNSS_IJLi1ELi2ELi3EEEESX_SY_SZ_NSS_IJLi7EEEENSS_IJLi8ELi9EEEENSS_IJLi10EEEES12_S13_S15_S14_NSS_IJLi15ELi16EEEENSS_IJLi17EEEEEEENSS_IJLi15ELi17ELi16EEEElEENSB_INS5_IJSQ_SO_SO_SQ_SG_EEENS5_IJST_SU_SV_SX_SW_EEENS5_IJNSS_IJLi1ELi2EEEESW_SX_NSS_IJLi5ELi6EEEES18_EEENSS_IJLi5ELi7ELi6EEEElEENSB_INS5_IJSK_SO_SO_EEENS5_IJST_SU_SV_EEENS5_IJS1I_SW_SX_EEENSS_IJLi3ELi4EEEElEELi128ELi128ELi16ELi4ELi4ELi4ELi1ENSS_IJLi8ELi2EEEES1S_NSS_IJLi8ELi1ELi1ELi4EEEENSS_IJLi2ELi1ELi128ELi1EEEENSS_IJLi1ELi2ELi0ELi3EEEES1V_NSS_IJLi4ELi1ELi1ELi4EEEES1V_NSS_IJLi1ELi1ELi1ELi4EEEES1T_S1U_S1V_S1V_S1W_S1V_S1X_NSS_IJLi0ELi1ELi2ELi3ELi4ELi5EEEELi5ELi4EEEaNS5_IJPKaEEEaS8_S8_S9_NSB_INS5_IJSE_SG_SI_SG_SG_SK_SG_SM_SM_SO_SO_SQ_SG_SG_NSP_INS5_IJiNS_17integral_constantIiLi128EEEEEELb0EEENSF_INS23_IiLi4EEEEEEEENS5_IJST_SU_SV_SW_SX_SY_SZ_S10_S11_S12_S13_S14_S15_NSS_IJLi15EEEES1C_NSS_IJLi16EEEEEEENS5_IJS17_SX_SY_SZ_S18_S19_S1A_S12_S13_S15_S14_S1B_S1C_NSS_IJLi18EEEENSS_IJLi19ELi20EEEENSS_IJLi21EEEEEEENSS_IJLi18ELi19ELi20ELi21EEEElEENSB_INS5_IJSQ_SO_SO_SQ_SG_SG_S26_S28_EEENS5_IJST_SU_SV_SX_SW_SY_S18_SZ_EEENS5_IJS1I_SW_SX_S1J_S18_NSS_IJLi8EEEENSS_IJLi9ELi10EEEES12_EEENSS_IJLi8ELi9ELi10ELi11EEEElEENS5_IJNSB_INS5_IJSK_SO_SO_NSP_INS5_IJiNS23_IiLi2EEENS23_IiLi64EEEEEELb0EEES2T_EEENS5_IJST_SU_SV_SW_SX_EEENS5_IJS1I_SW_SX_NSS_IJLi5ELi6ELi7EEEENSS_IJLi8ELi9ELi10EEEEEEENSS_IJLi5ELi6ELi7ELi8ELi9ELi10EEEElEEEEES30_NS_31BlockToCTileMap_M00_N00_M01_N01ILi128ELi128ES1R_Lb0EEENS1_30ComputePtrOffsetOfStridedBatchILi1ELi1ELi1EvEELb1ELb0EEEvPKT0_S38_T1_PT2_T3_T4_T5_iT6_T7_T8_T9_T10_T11_
                                        ; -- End function
	.section	.AMDGPU.csdata,"",@progbits
; Kernel info:
; codeLenInByte = 13968
; NumSgprs: 96
; NumVgprs: 106
; NumAgprs: 0
; TotalNumVgprs: 106
; ScratchSize: 480
; MemoryBound: 0
; FloatMode: 240
; IeeeMode: 1
; LDSByteSize: 32768 bytes/workgroup (compile time only)
; SGPRBlocks: 11
; VGPRBlocks: 13
; NumSGPRsForWavesPerEU: 96
; NumVGPRsForWavesPerEU: 106
; AccumOffset: 108
; Occupancy: 2
; WaveLimiterHint : 1
; COMPUTE_PGM_RSRC2:SCRATCH_EN: 1
; COMPUTE_PGM_RSRC2:USER_SGPR: 8
; COMPUTE_PGM_RSRC2:TRAP_HANDLER: 0
; COMPUTE_PGM_RSRC2:TGID_X_EN: 1
; COMPUTE_PGM_RSRC2:TGID_Y_EN: 0
; COMPUTE_PGM_RSRC2:TGID_Z_EN: 0
; COMPUTE_PGM_RSRC2:TIDIG_COMP_CNT: 0
; COMPUTE_PGM_RSRC3_GFX90A:ACCUM_OFFSET: 26
; COMPUTE_PGM_RSRC3_GFX90A:TG_SPLIT: 0
	.section	.text._ZN2ck16tensor_operation6device12_GLOBAL__N_137kernel_grouped_conv_fwd_dl_multiple_dINS_32GridwiseGemmDlMultipleD_km_kn_mnILi256EaiNS_5TupleIJaEEEaNS0_12element_wise11PassThroughES8_NS7_7AddReluELNS_25InMemoryDataOperationEnumE0ENS_16TensorDescriptorINS5_IJNS_5EmbedINS5_IJiiiEEESD_Lb0EEENS_11PassThroughIiEENS_3PadIiiiLb0EEESG_SG_NSC_INS5_IJiiEEESJ_Lb0EEESG_NS_23Merge_v2_magic_divisionISJ_EESM_NS_8RightPadIiiLb0EEESO_NS_7UnMergeISJ_Lb0EEESG_EEENS5_IJNS_8SequenceIJLi0EEEENSS_IJLi1EEEENSS_IJLi2EEEENSS_IJLi3EEEENSS_IJLi4EEEENSS_IJLi5EEEENSS_IJLi6EEEENSS_IJLi7ELi9EEEENSS_IJLi8ELi10EEEENSS_IJLi11EEEENSS_IJLi12EEEENSS_IJLi14EEEENSS_IJLi13EEEEEEENS5_IJNSS_IJLi1ELi2ELi3EEEESX_SY_SZ_NSS_IJLi7EEEENSS_IJLi8ELi9EEEENSS_IJLi10EEEES12_S13_S15_S14_NSS_IJLi15ELi16EEEENSS_IJLi17EEEEEEENSS_IJLi15ELi17ELi16EEEElEENSB_INS5_IJSQ_SO_SO_SQ_SG_EEENS5_IJST_SU_SV_SX_SW_EEENS5_IJNSS_IJLi1ELi2EEEESW_SX_NSS_IJLi5ELi6EEEES18_EEENSS_IJLi5ELi7ELi6EEEElEENSB_INS5_IJSK_SO_SO_EEENS5_IJST_SU_SV_EEENS5_IJS1I_SW_SX_EEENSS_IJLi3ELi4EEEElEELi128ELi128ELi16ELi4ELi4ELi4ELi1ENSS_IJLi8ELi2EEEES1S_NSS_IJLi8ELi1ELi1ELi4EEEENSS_IJLi2ELi1ELi128ELi1EEEENSS_IJLi1ELi2ELi0ELi3EEEES1V_NSS_IJLi4ELi1ELi1ELi4EEEES1V_NSS_IJLi1ELi1ELi1ELi4EEEES1T_S1U_S1V_S1V_S1W_S1V_S1X_NSS_IJLi0ELi1ELi2ELi3ELi4ELi5EEEELi5ELi4EEEaNS5_IJPKaEEEaS8_S8_S9_NSB_INS5_IJSE_SG_SI_SG_SG_SK_SG_SM_SM_SO_SO_SQ_SG_SG_NSP_INS5_IJiNS_17integral_constantIiLi128EEEEEELb0EEENSF_INS23_IiLi4EEEEEEEENS5_IJST_SU_SV_SW_SX_SY_SZ_S10_S11_S12_S13_S14_S15_NSS_IJLi15EEEES1C_NSS_IJLi16EEEEEEENS5_IJS17_SX_SY_SZ_S18_S19_S1A_S12_S13_S15_S14_S1B_S1C_NSS_IJLi18EEEENSS_IJLi19ELi20EEEENSS_IJLi21EEEEEEENSS_IJLi18ELi19ELi20ELi21EEEElEENSB_INS5_IJSQ_SO_SO_SQ_SG_SG_S26_S28_EEENS5_IJST_SU_SV_SX_SW_SY_S18_SZ_EEENS5_IJS1I_SW_SX_S1J_S18_NSS_IJLi8EEEENSS_IJLi9ELi10EEEES12_EEENSS_IJLi8ELi9ELi10ELi11EEEElEENS5_IJNSB_INS5_IJSK_SO_SO_NSP_INS5_IJiNS23_IiLi2EEENS23_IiLi64EEEEEELb0EEES2T_EEENS5_IJST_SU_SV_SW_SX_EEENS5_IJS1I_SW_SX_NSS_IJLi5ELi6ELi7EEEENSS_IJLi8ELi9ELi10EEEEEEENSS_IJLi5ELi6ELi7ELi8ELi9ELi10EEEElEEEEES30_NS_31BlockToCTileMap_M00_N00_M01_N01ILi128ELi128ES1R_Lb0EEENS1_30ComputePtrOffsetOfStridedBatchILi1ELi1ELi1EvEELb0ELb1EEEvPKT0_S38_T1_PT2_T3_T4_T5_iT6_T7_T8_T9_T10_T11_,"axG",@progbits,_ZN2ck16tensor_operation6device12_GLOBAL__N_137kernel_grouped_conv_fwd_dl_multiple_dINS_32GridwiseGemmDlMultipleD_km_kn_mnILi256EaiNS_5TupleIJaEEEaNS0_12element_wise11PassThroughES8_NS7_7AddReluELNS_25InMemoryDataOperationEnumE0ENS_16TensorDescriptorINS5_IJNS_5EmbedINS5_IJiiiEEESD_Lb0EEENS_11PassThroughIiEENS_3PadIiiiLb0EEESG_SG_NSC_INS5_IJiiEEESJ_Lb0EEESG_NS_23Merge_v2_magic_divisionISJ_EESM_NS_8RightPadIiiLb0EEESO_NS_7UnMergeISJ_Lb0EEESG_EEENS5_IJNS_8SequenceIJLi0EEEENSS_IJLi1EEEENSS_IJLi2EEEENSS_IJLi3EEEENSS_IJLi4EEEENSS_IJLi5EEEENSS_IJLi6EEEENSS_IJLi7ELi9EEEENSS_IJLi8ELi10EEEENSS_IJLi11EEEENSS_IJLi12EEEENSS_IJLi14EEEENSS_IJLi13EEEEEEENS5_IJNSS_IJLi1ELi2ELi3EEEESX_SY_SZ_NSS_IJLi7EEEENSS_IJLi8ELi9EEEENSS_IJLi10EEEES12_S13_S15_S14_NSS_IJLi15ELi16EEEENSS_IJLi17EEEEEEENSS_IJLi15ELi17ELi16EEEElEENSB_INS5_IJSQ_SO_SO_SQ_SG_EEENS5_IJST_SU_SV_SX_SW_EEENS5_IJNSS_IJLi1ELi2EEEESW_SX_NSS_IJLi5ELi6EEEES18_EEENSS_IJLi5ELi7ELi6EEEElEENSB_INS5_IJSK_SO_SO_EEENS5_IJST_SU_SV_EEENS5_IJS1I_SW_SX_EEENSS_IJLi3ELi4EEEElEELi128ELi128ELi16ELi4ELi4ELi4ELi1ENSS_IJLi8ELi2EEEES1S_NSS_IJLi8ELi1ELi1ELi4EEEENSS_IJLi2ELi1ELi128ELi1EEEENSS_IJLi1ELi2ELi0ELi3EEEES1V_NSS_IJLi4ELi1ELi1ELi4EEEES1V_NSS_IJLi1ELi1ELi1ELi4EEEES1T_S1U_S1V_S1V_S1W_S1V_S1X_NSS_IJLi0ELi1ELi2ELi3ELi4ELi5EEEELi5ELi4EEEaNS5_IJPKaEEEaS8_S8_S9_NSB_INS5_IJSE_SG_SI_SG_SG_SK_SG_SM_SM_SO_SO_SQ_SG_SG_NSP_INS5_IJiNS_17integral_constantIiLi128EEEEEELb0EEENSF_INS23_IiLi4EEEEEEEENS5_IJST_SU_SV_SW_SX_SY_SZ_S10_S11_S12_S13_S14_S15_NSS_IJLi15EEEES1C_NSS_IJLi16EEEEEEENS5_IJS17_SX_SY_SZ_S18_S19_S1A_S12_S13_S15_S14_S1B_S1C_NSS_IJLi18EEEENSS_IJLi19ELi20EEEENSS_IJLi21EEEEEEENSS_IJLi18ELi19ELi20ELi21EEEElEENSB_INS5_IJSQ_SO_SO_SQ_SG_SG_S26_S28_EEENS5_IJST_SU_SV_SX_SW_SY_S18_SZ_EEENS5_IJS1I_SW_SX_S1J_S18_NSS_IJLi8EEEENSS_IJLi9ELi10EEEES12_EEENSS_IJLi8ELi9ELi10ELi11EEEElEENS5_IJNSB_INS5_IJSK_SO_SO_NSP_INS5_IJiNS23_IiLi2EEENS23_IiLi64EEEEEELb0EEES2T_EEENS5_IJST_SU_SV_SW_SX_EEENS5_IJS1I_SW_SX_NSS_IJLi5ELi6ELi7EEEENSS_IJLi8ELi9ELi10EEEEEEENSS_IJLi5ELi6ELi7ELi8ELi9ELi10EEEElEEEEES30_NS_31BlockToCTileMap_M00_N00_M01_N01ILi128ELi128ES1R_Lb0EEENS1_30ComputePtrOffsetOfStridedBatchILi1ELi1ELi1EvEELb0ELb1EEEvPKT0_S38_T1_PT2_T3_T4_T5_iT6_T7_T8_T9_T10_T11_,comdat
	.globl	_ZN2ck16tensor_operation6device12_GLOBAL__N_137kernel_grouped_conv_fwd_dl_multiple_dINS_32GridwiseGemmDlMultipleD_km_kn_mnILi256EaiNS_5TupleIJaEEEaNS0_12element_wise11PassThroughES8_NS7_7AddReluELNS_25InMemoryDataOperationEnumE0ENS_16TensorDescriptorINS5_IJNS_5EmbedINS5_IJiiiEEESD_Lb0EEENS_11PassThroughIiEENS_3PadIiiiLb0EEESG_SG_NSC_INS5_IJiiEEESJ_Lb0EEESG_NS_23Merge_v2_magic_divisionISJ_EESM_NS_8RightPadIiiLb0EEESO_NS_7UnMergeISJ_Lb0EEESG_EEENS5_IJNS_8SequenceIJLi0EEEENSS_IJLi1EEEENSS_IJLi2EEEENSS_IJLi3EEEENSS_IJLi4EEEENSS_IJLi5EEEENSS_IJLi6EEEENSS_IJLi7ELi9EEEENSS_IJLi8ELi10EEEENSS_IJLi11EEEENSS_IJLi12EEEENSS_IJLi14EEEENSS_IJLi13EEEEEEENS5_IJNSS_IJLi1ELi2ELi3EEEESX_SY_SZ_NSS_IJLi7EEEENSS_IJLi8ELi9EEEENSS_IJLi10EEEES12_S13_S15_S14_NSS_IJLi15ELi16EEEENSS_IJLi17EEEEEEENSS_IJLi15ELi17ELi16EEEElEENSB_INS5_IJSQ_SO_SO_SQ_SG_EEENS5_IJST_SU_SV_SX_SW_EEENS5_IJNSS_IJLi1ELi2EEEESW_SX_NSS_IJLi5ELi6EEEES18_EEENSS_IJLi5ELi7ELi6EEEElEENSB_INS5_IJSK_SO_SO_EEENS5_IJST_SU_SV_EEENS5_IJS1I_SW_SX_EEENSS_IJLi3ELi4EEEElEELi128ELi128ELi16ELi4ELi4ELi4ELi1ENSS_IJLi8ELi2EEEES1S_NSS_IJLi8ELi1ELi1ELi4EEEENSS_IJLi2ELi1ELi128ELi1EEEENSS_IJLi1ELi2ELi0ELi3EEEES1V_NSS_IJLi4ELi1ELi1ELi4EEEES1V_NSS_IJLi1ELi1ELi1ELi4EEEES1T_S1U_S1V_S1V_S1W_S1V_S1X_NSS_IJLi0ELi1ELi2ELi3ELi4ELi5EEEELi5ELi4EEEaNS5_IJPKaEEEaS8_S8_S9_NSB_INS5_IJSE_SG_SI_SG_SG_SK_SG_SM_SM_SO_SO_SQ_SG_SG_NSP_INS5_IJiNS_17integral_constantIiLi128EEEEEELb0EEENSF_INS23_IiLi4EEEEEEEENS5_IJST_SU_SV_SW_SX_SY_SZ_S10_S11_S12_S13_S14_S15_NSS_IJLi15EEEES1C_NSS_IJLi16EEEEEEENS5_IJS17_SX_SY_SZ_S18_S19_S1A_S12_S13_S15_S14_S1B_S1C_NSS_IJLi18EEEENSS_IJLi19ELi20EEEENSS_IJLi21EEEEEEENSS_IJLi18ELi19ELi20ELi21EEEElEENSB_INS5_IJSQ_SO_SO_SQ_SG_SG_S26_S28_EEENS5_IJST_SU_SV_SX_SW_SY_S18_SZ_EEENS5_IJS1I_SW_SX_S1J_S18_NSS_IJLi8EEEENSS_IJLi9ELi10EEEES12_EEENSS_IJLi8ELi9ELi10ELi11EEEElEENS5_IJNSB_INS5_IJSK_SO_SO_NSP_INS5_IJiNS23_IiLi2EEENS23_IiLi64EEEEEELb0EEES2T_EEENS5_IJST_SU_SV_SW_SX_EEENS5_IJS1I_SW_SX_NSS_IJLi5ELi6ELi7EEEENSS_IJLi8ELi9ELi10EEEEEEENSS_IJLi5ELi6ELi7ELi8ELi9ELi10EEEElEEEEES30_NS_31BlockToCTileMap_M00_N00_M01_N01ILi128ELi128ES1R_Lb0EEENS1_30ComputePtrOffsetOfStridedBatchILi1ELi1ELi1EvEELb0ELb1EEEvPKT0_S38_T1_PT2_T3_T4_T5_iT6_T7_T8_T9_T10_T11_ ; -- Begin function _ZN2ck16tensor_operation6device12_GLOBAL__N_137kernel_grouped_conv_fwd_dl_multiple_dINS_32GridwiseGemmDlMultipleD_km_kn_mnILi256EaiNS_5TupleIJaEEEaNS0_12element_wise11PassThroughES8_NS7_7AddReluELNS_25InMemoryDataOperationEnumE0ENS_16TensorDescriptorINS5_IJNS_5EmbedINS5_IJiiiEEESD_Lb0EEENS_11PassThroughIiEENS_3PadIiiiLb0EEESG_SG_NSC_INS5_IJiiEEESJ_Lb0EEESG_NS_23Merge_v2_magic_divisionISJ_EESM_NS_8RightPadIiiLb0EEESO_NS_7UnMergeISJ_Lb0EEESG_EEENS5_IJNS_8SequenceIJLi0EEEENSS_IJLi1EEEENSS_IJLi2EEEENSS_IJLi3EEEENSS_IJLi4EEEENSS_IJLi5EEEENSS_IJLi6EEEENSS_IJLi7ELi9EEEENSS_IJLi8ELi10EEEENSS_IJLi11EEEENSS_IJLi12EEEENSS_IJLi14EEEENSS_IJLi13EEEEEEENS5_IJNSS_IJLi1ELi2ELi3EEEESX_SY_SZ_NSS_IJLi7EEEENSS_IJLi8ELi9EEEENSS_IJLi10EEEES12_S13_S15_S14_NSS_IJLi15ELi16EEEENSS_IJLi17EEEEEEENSS_IJLi15ELi17ELi16EEEElEENSB_INS5_IJSQ_SO_SO_SQ_SG_EEENS5_IJST_SU_SV_SX_SW_EEENS5_IJNSS_IJLi1ELi2EEEESW_SX_NSS_IJLi5ELi6EEEES18_EEENSS_IJLi5ELi7ELi6EEEElEENSB_INS5_IJSK_SO_SO_EEENS5_IJST_SU_SV_EEENS5_IJS1I_SW_SX_EEENSS_IJLi3ELi4EEEElEELi128ELi128ELi16ELi4ELi4ELi4ELi1ENSS_IJLi8ELi2EEEES1S_NSS_IJLi8ELi1ELi1ELi4EEEENSS_IJLi2ELi1ELi128ELi1EEEENSS_IJLi1ELi2ELi0ELi3EEEES1V_NSS_IJLi4ELi1ELi1ELi4EEEES1V_NSS_IJLi1ELi1ELi1ELi4EEEES1T_S1U_S1V_S1V_S1W_S1V_S1X_NSS_IJLi0ELi1ELi2ELi3ELi4ELi5EEEELi5ELi4EEEaNS5_IJPKaEEEaS8_S8_S9_NSB_INS5_IJSE_SG_SI_SG_SG_SK_SG_SM_SM_SO_SO_SQ_SG_SG_NSP_INS5_IJiNS_17integral_constantIiLi128EEEEEELb0EEENSF_INS23_IiLi4EEEEEEEENS5_IJST_SU_SV_SW_SX_SY_SZ_S10_S11_S12_S13_S14_S15_NSS_IJLi15EEEES1C_NSS_IJLi16EEEEEEENS5_IJS17_SX_SY_SZ_S18_S19_S1A_S12_S13_S15_S14_S1B_S1C_NSS_IJLi18EEEENSS_IJLi19ELi20EEEENSS_IJLi21EEEEEEENSS_IJLi18ELi19ELi20ELi21EEEElEENSB_INS5_IJSQ_SO_SO_SQ_SG_SG_S26_S28_EEENS5_IJST_SU_SV_SX_SW_SY_S18_SZ_EEENS5_IJS1I_SW_SX_S1J_S18_NSS_IJLi8EEEENSS_IJLi9ELi10EEEES12_EEENSS_IJLi8ELi9ELi10ELi11EEEElEENS5_IJNSB_INS5_IJSK_SO_SO_NSP_INS5_IJiNS23_IiLi2EEENS23_IiLi64EEEEEELb0EEES2T_EEENS5_IJST_SU_SV_SW_SX_EEENS5_IJS1I_SW_SX_NSS_IJLi5ELi6ELi7EEEENSS_IJLi8ELi9ELi10EEEEEEENSS_IJLi5ELi6ELi7ELi8ELi9ELi10EEEElEEEEES30_NS_31BlockToCTileMap_M00_N00_M01_N01ILi128ELi128ES1R_Lb0EEENS1_30ComputePtrOffsetOfStridedBatchILi1ELi1ELi1EvEELb0ELb1EEEvPKT0_S38_T1_PT2_T3_T4_T5_iT6_T7_T8_T9_T10_T11_
	.p2align	8
	.type	_ZN2ck16tensor_operation6device12_GLOBAL__N_137kernel_grouped_conv_fwd_dl_multiple_dINS_32GridwiseGemmDlMultipleD_km_kn_mnILi256EaiNS_5TupleIJaEEEaNS0_12element_wise11PassThroughES8_NS7_7AddReluELNS_25InMemoryDataOperationEnumE0ENS_16TensorDescriptorINS5_IJNS_5EmbedINS5_IJiiiEEESD_Lb0EEENS_11PassThroughIiEENS_3PadIiiiLb0EEESG_SG_NSC_INS5_IJiiEEESJ_Lb0EEESG_NS_23Merge_v2_magic_divisionISJ_EESM_NS_8RightPadIiiLb0EEESO_NS_7UnMergeISJ_Lb0EEESG_EEENS5_IJNS_8SequenceIJLi0EEEENSS_IJLi1EEEENSS_IJLi2EEEENSS_IJLi3EEEENSS_IJLi4EEEENSS_IJLi5EEEENSS_IJLi6EEEENSS_IJLi7ELi9EEEENSS_IJLi8ELi10EEEENSS_IJLi11EEEENSS_IJLi12EEEENSS_IJLi14EEEENSS_IJLi13EEEEEEENS5_IJNSS_IJLi1ELi2ELi3EEEESX_SY_SZ_NSS_IJLi7EEEENSS_IJLi8ELi9EEEENSS_IJLi10EEEES12_S13_S15_S14_NSS_IJLi15ELi16EEEENSS_IJLi17EEEEEEENSS_IJLi15ELi17ELi16EEEElEENSB_INS5_IJSQ_SO_SO_SQ_SG_EEENS5_IJST_SU_SV_SX_SW_EEENS5_IJNSS_IJLi1ELi2EEEESW_SX_NSS_IJLi5ELi6EEEES18_EEENSS_IJLi5ELi7ELi6EEEElEENSB_INS5_IJSK_SO_SO_EEENS5_IJST_SU_SV_EEENS5_IJS1I_SW_SX_EEENSS_IJLi3ELi4EEEElEELi128ELi128ELi16ELi4ELi4ELi4ELi1ENSS_IJLi8ELi2EEEES1S_NSS_IJLi8ELi1ELi1ELi4EEEENSS_IJLi2ELi1ELi128ELi1EEEENSS_IJLi1ELi2ELi0ELi3EEEES1V_NSS_IJLi4ELi1ELi1ELi4EEEES1V_NSS_IJLi1ELi1ELi1ELi4EEEES1T_S1U_S1V_S1V_S1W_S1V_S1X_NSS_IJLi0ELi1ELi2ELi3ELi4ELi5EEEELi5ELi4EEEaNS5_IJPKaEEEaS8_S8_S9_NSB_INS5_IJSE_SG_SI_SG_SG_SK_SG_SM_SM_SO_SO_SQ_SG_SG_NSP_INS5_IJiNS_17integral_constantIiLi128EEEEEELb0EEENSF_INS23_IiLi4EEEEEEEENS5_IJST_SU_SV_SW_SX_SY_SZ_S10_S11_S12_S13_S14_S15_NSS_IJLi15EEEES1C_NSS_IJLi16EEEEEEENS5_IJS17_SX_SY_SZ_S18_S19_S1A_S12_S13_S15_S14_S1B_S1C_NSS_IJLi18EEEENSS_IJLi19ELi20EEEENSS_IJLi21EEEEEEENSS_IJLi18ELi19ELi20ELi21EEEElEENSB_INS5_IJSQ_SO_SO_SQ_SG_SG_S26_S28_EEENS5_IJST_SU_SV_SX_SW_SY_S18_SZ_EEENS5_IJS1I_SW_SX_S1J_S18_NSS_IJLi8EEEENSS_IJLi9ELi10EEEES12_EEENSS_IJLi8ELi9ELi10ELi11EEEElEENS5_IJNSB_INS5_IJSK_SO_SO_NSP_INS5_IJiNS23_IiLi2EEENS23_IiLi64EEEEEELb0EEES2T_EEENS5_IJST_SU_SV_SW_SX_EEENS5_IJS1I_SW_SX_NSS_IJLi5ELi6ELi7EEEENSS_IJLi8ELi9ELi10EEEEEEENSS_IJLi5ELi6ELi7ELi8ELi9ELi10EEEElEEEEES30_NS_31BlockToCTileMap_M00_N00_M01_N01ILi128ELi128ES1R_Lb0EEENS1_30ComputePtrOffsetOfStridedBatchILi1ELi1ELi1EvEELb0ELb1EEEvPKT0_S38_T1_PT2_T3_T4_T5_iT6_T7_T8_T9_T10_T11_,@function
_ZN2ck16tensor_operation6device12_GLOBAL__N_137kernel_grouped_conv_fwd_dl_multiple_dINS_32GridwiseGemmDlMultipleD_km_kn_mnILi256EaiNS_5TupleIJaEEEaNS0_12element_wise11PassThroughES8_NS7_7AddReluELNS_25InMemoryDataOperationEnumE0ENS_16TensorDescriptorINS5_IJNS_5EmbedINS5_IJiiiEEESD_Lb0EEENS_11PassThroughIiEENS_3PadIiiiLb0EEESG_SG_NSC_INS5_IJiiEEESJ_Lb0EEESG_NS_23Merge_v2_magic_divisionISJ_EESM_NS_8RightPadIiiLb0EEESO_NS_7UnMergeISJ_Lb0EEESG_EEENS5_IJNS_8SequenceIJLi0EEEENSS_IJLi1EEEENSS_IJLi2EEEENSS_IJLi3EEEENSS_IJLi4EEEENSS_IJLi5EEEENSS_IJLi6EEEENSS_IJLi7ELi9EEEENSS_IJLi8ELi10EEEENSS_IJLi11EEEENSS_IJLi12EEEENSS_IJLi14EEEENSS_IJLi13EEEEEEENS5_IJNSS_IJLi1ELi2ELi3EEEESX_SY_SZ_NSS_IJLi7EEEENSS_IJLi8ELi9EEEENSS_IJLi10EEEES12_S13_S15_S14_NSS_IJLi15ELi16EEEENSS_IJLi17EEEEEEENSS_IJLi15ELi17ELi16EEEElEENSB_INS5_IJSQ_SO_SO_SQ_SG_EEENS5_IJST_SU_SV_SX_SW_EEENS5_IJNSS_IJLi1ELi2EEEESW_SX_NSS_IJLi5ELi6EEEES18_EEENSS_IJLi5ELi7ELi6EEEElEENSB_INS5_IJSK_SO_SO_EEENS5_IJST_SU_SV_EEENS5_IJS1I_SW_SX_EEENSS_IJLi3ELi4EEEElEELi128ELi128ELi16ELi4ELi4ELi4ELi1ENSS_IJLi8ELi2EEEES1S_NSS_IJLi8ELi1ELi1ELi4EEEENSS_IJLi2ELi1ELi128ELi1EEEENSS_IJLi1ELi2ELi0ELi3EEEES1V_NSS_IJLi4ELi1ELi1ELi4EEEES1V_NSS_IJLi1ELi1ELi1ELi4EEEES1T_S1U_S1V_S1V_S1W_S1V_S1X_NSS_IJLi0ELi1ELi2ELi3ELi4ELi5EEEELi5ELi4EEEaNS5_IJPKaEEEaS8_S8_S9_NSB_INS5_IJSE_SG_SI_SG_SG_SK_SG_SM_SM_SO_SO_SQ_SG_SG_NSP_INS5_IJiNS_17integral_constantIiLi128EEEEEELb0EEENSF_INS23_IiLi4EEEEEEEENS5_IJST_SU_SV_SW_SX_SY_SZ_S10_S11_S12_S13_S14_S15_NSS_IJLi15EEEES1C_NSS_IJLi16EEEEEEENS5_IJS17_SX_SY_SZ_S18_S19_S1A_S12_S13_S15_S14_S1B_S1C_NSS_IJLi18EEEENSS_IJLi19ELi20EEEENSS_IJLi21EEEEEEENSS_IJLi18ELi19ELi20ELi21EEEElEENSB_INS5_IJSQ_SO_SO_SQ_SG_SG_S26_S28_EEENS5_IJST_SU_SV_SX_SW_SY_S18_SZ_EEENS5_IJS1I_SW_SX_S1J_S18_NSS_IJLi8EEEENSS_IJLi9ELi10EEEES12_EEENSS_IJLi8ELi9ELi10ELi11EEEElEENS5_IJNSB_INS5_IJSK_SO_SO_NSP_INS5_IJiNS23_IiLi2EEENS23_IiLi64EEEEEELb0EEES2T_EEENS5_IJST_SU_SV_SW_SX_EEENS5_IJS1I_SW_SX_NSS_IJLi5ELi6ELi7EEEENSS_IJLi8ELi9ELi10EEEEEEENSS_IJLi5ELi6ELi7ELi8ELi9ELi10EEEElEEEEES30_NS_31BlockToCTileMap_M00_N00_M01_N01ILi128ELi128ES1R_Lb0EEENS1_30ComputePtrOffsetOfStridedBatchILi1ELi1ELi1EvEELb0ELb1EEEvPKT0_S38_T1_PT2_T3_T4_T5_iT6_T7_T8_T9_T10_T11_: ; @_ZN2ck16tensor_operation6device12_GLOBAL__N_137kernel_grouped_conv_fwd_dl_multiple_dINS_32GridwiseGemmDlMultipleD_km_kn_mnILi256EaiNS_5TupleIJaEEEaNS0_12element_wise11PassThroughES8_NS7_7AddReluELNS_25InMemoryDataOperationEnumE0ENS_16TensorDescriptorINS5_IJNS_5EmbedINS5_IJiiiEEESD_Lb0EEENS_11PassThroughIiEENS_3PadIiiiLb0EEESG_SG_NSC_INS5_IJiiEEESJ_Lb0EEESG_NS_23Merge_v2_magic_divisionISJ_EESM_NS_8RightPadIiiLb0EEESO_NS_7UnMergeISJ_Lb0EEESG_EEENS5_IJNS_8SequenceIJLi0EEEENSS_IJLi1EEEENSS_IJLi2EEEENSS_IJLi3EEEENSS_IJLi4EEEENSS_IJLi5EEEENSS_IJLi6EEEENSS_IJLi7ELi9EEEENSS_IJLi8ELi10EEEENSS_IJLi11EEEENSS_IJLi12EEEENSS_IJLi14EEEENSS_IJLi13EEEEEEENS5_IJNSS_IJLi1ELi2ELi3EEEESX_SY_SZ_NSS_IJLi7EEEENSS_IJLi8ELi9EEEENSS_IJLi10EEEES12_S13_S15_S14_NSS_IJLi15ELi16EEEENSS_IJLi17EEEEEEENSS_IJLi15ELi17ELi16EEEElEENSB_INS5_IJSQ_SO_SO_SQ_SG_EEENS5_IJST_SU_SV_SX_SW_EEENS5_IJNSS_IJLi1ELi2EEEESW_SX_NSS_IJLi5ELi6EEEES18_EEENSS_IJLi5ELi7ELi6EEEElEENSB_INS5_IJSK_SO_SO_EEENS5_IJST_SU_SV_EEENS5_IJS1I_SW_SX_EEENSS_IJLi3ELi4EEEElEELi128ELi128ELi16ELi4ELi4ELi4ELi1ENSS_IJLi8ELi2EEEES1S_NSS_IJLi8ELi1ELi1ELi4EEEENSS_IJLi2ELi1ELi128ELi1EEEENSS_IJLi1ELi2ELi0ELi3EEEES1V_NSS_IJLi4ELi1ELi1ELi4EEEES1V_NSS_IJLi1ELi1ELi1ELi4EEEES1T_S1U_S1V_S1V_S1W_S1V_S1X_NSS_IJLi0ELi1ELi2ELi3ELi4ELi5EEEELi5ELi4EEEaNS5_IJPKaEEEaS8_S8_S9_NSB_INS5_IJSE_SG_SI_SG_SG_SK_SG_SM_SM_SO_SO_SQ_SG_SG_NSP_INS5_IJiNS_17integral_constantIiLi128EEEEEELb0EEENSF_INS23_IiLi4EEEEEEEENS5_IJST_SU_SV_SW_SX_SY_SZ_S10_S11_S12_S13_S14_S15_NSS_IJLi15EEEES1C_NSS_IJLi16EEEEEEENS5_IJS17_SX_SY_SZ_S18_S19_S1A_S12_S13_S15_S14_S1B_S1C_NSS_IJLi18EEEENSS_IJLi19ELi20EEEENSS_IJLi21EEEEEEENSS_IJLi18ELi19ELi20ELi21EEEElEENSB_INS5_IJSQ_SO_SO_SQ_SG_SG_S26_S28_EEENS5_IJST_SU_SV_SX_SW_SY_S18_SZ_EEENS5_IJS1I_SW_SX_S1J_S18_NSS_IJLi8EEEENSS_IJLi9ELi10EEEES12_EEENSS_IJLi8ELi9ELi10ELi11EEEElEENS5_IJNSB_INS5_IJSK_SO_SO_NSP_INS5_IJiNS23_IiLi2EEENS23_IiLi64EEEEEELb0EEES2T_EEENS5_IJST_SU_SV_SW_SX_EEENS5_IJS1I_SW_SX_NSS_IJLi5ELi6ELi7EEEENSS_IJLi8ELi9ELi10EEEEEEENSS_IJLi5ELi6ELi7ELi8ELi9ELi10EEEElEEEEES30_NS_31BlockToCTileMap_M00_N00_M01_N01ILi128ELi128ES1R_Lb0EEENS1_30ComputePtrOffsetOfStridedBatchILi1ELi1ELi1EvEELb0ELb1EEEvPKT0_S38_T1_PT2_T3_T4_T5_iT6_T7_T8_T9_T10_T11_
; %bb.0:
	s_add_u32 flat_scratch_lo, s6, s9
	s_addc_u32 flat_scratch_hi, s7, 0
	s_add_u32 s0, s0, s9
	s_addc_u32 s1, s1, 0
	s_load_dwordx8 s[20:27], s[4:5], 0x0
	s_load_dword s9, s[4:5], 0x24
	s_load_dwordx8 s[12:19], s[4:5], 0x34
	s_load_dwordx2 s[34:35], s[4:5], 0x60
	s_load_dword s10, s[4:5], 0x70
	s_load_dword s11, s[4:5], 0x78
	;; [unrolled: 1-line block ×3, first 2 shown]
	s_waitcnt lgkmcnt(0)
	s_abs_i32 s29, s9
	v_cvt_f32_u32_e32 v1, s29
	s_load_dword s15, s[4:5], 0x8c
	s_load_dword s33, s[4:5], 0x94
	;; [unrolled: 1-line block ×5, first 2 shown]
	s_sub_i32 s36, 0, s29
	s_load_dword s62, s[4:5], 0xc4
	s_load_dword s46, s[4:5], 0xe8
	;; [unrolled: 1-line block ×7, first 2 shown]
	v_rcp_iflag_f32_e32 v1, v1
	s_load_dword s47, s[4:5], 0x204
	s_load_dword s64, s[4:5], 0x214
	s_waitcnt lgkmcnt(0)
	s_xor_b32 s9, s28, s9
	s_abs_i32 s28, s28
	v_mul_f32_e32 v1, 0x4f7ffffe, v1
	v_cvt_u32_f32_e32 v1, v1
	s_ashr_i32 s9, s9, 31
	s_load_dwordx4 s[48:51], s[4:5], 0x220
	s_load_dwordx4 s[56:59], s[4:5], 0x234
	;; [unrolled: 1-line block ×3, first 2 shown]
	v_lshrrev_b32_e32 v19, 1, v0
	v_readfirstlane_b32 s37, v1
	s_mul_i32 s36, s36, s37
	s_mul_hi_u32 s36, s37, s36
	s_add_i32 s37, s37, s36
	s_mul_hi_u32 s36, s28, s37
	s_mul_i32 s37, s36, s29
	s_sub_i32 s28, s28, s37
	s_add_i32 s37, s36, 1
	s_sub_i32 s38, s28, s29
	s_cmp_ge_u32 s28, s29
	s_cselect_b32 s36, s37, s36
	s_cselect_b32 s28, s38, s28
	s_add_i32 s37, s36, 1
	s_cmp_ge_u32 s28, s29
	s_cselect_b32 s28, s37, s36
	s_xor_b32 s28, s28, s9
	s_sub_i32 s9, s28, s9
	s_abs_i32 s28, s9
	v_cvt_f32_u32_e32 v1, s28
	s_sub_i32 s44, 0, s28
	s_abs_i32 s29, s8
	s_xor_b32 s9, s8, s9
	v_rcp_iflag_f32_e32 v1, v1
	s_ashr_i32 s9, s9, 31
	s_load_dwordx8 s[36:43], s[4:5], 0x260
	v_mov_b32_e32 v34, 0
	v_mul_f32_e32 v1, 0x4f7ffffe, v1
	v_cvt_u32_f32_e32 v1, v1
	s_movk_i32 s32, 0x7800
	v_readfirstlane_b32 s45, v1
	s_mul_i32 s44, s44, s45
	s_mul_hi_u32 s44, s45, s44
	s_add_i32 s45, s45, s44
	s_mul_hi_u32 s44, s29, s45
	s_mul_i32 s45, s44, s28
	s_sub_i32 s29, s29, s45
	s_add_i32 s45, s44, 1
	s_sub_i32 s65, s29, s28
	s_cmp_ge_u32 s29, s28
	s_cselect_b32 s44, s45, s44
	s_cselect_b32 s29, s65, s29
	s_add_i32 s45, s44, 1
	s_cmp_ge_u32 s29, s28
	s_cselect_b32 s28, s45, s44
	s_xor_b32 s28, s28, s9
	s_sub_i32 s9, s28, s9
	s_ashr_i32 s28, s9, 31
	s_waitcnt lgkmcnt(0)
	s_mul_i32 s29, s36, s28
	s_mul_hi_u32 s44, s36, s9
	s_add_i32 s29, s44, s29
	s_mul_i32 s37, s37, s9
	s_add_i32 s29, s29, s37
	s_mul_i32 s37, s38, s28
	s_mul_hi_u32 s44, s38, s9
	s_add_i32 s37, s44, s37
	s_mul_i32 s39, s39, s9
	s_add_i32 s37, s37, s39
	;; [unrolled: 5-line block ×3, first 2 shown]
	s_mul_i32 s28, s40, s28
	s_mul_hi_u32 s43, s40, s9
	s_add_i32 s28, s43, s28
	s_mul_i32 s41, s41, s9
	s_mul_i32 s36, s36, s9
	;; [unrolled: 1-line block ×4, first 2 shown]
	s_add_i32 s28, s28, s41
	s_mul_i32 s9, s40, s9
	s_add_u32 s24, s24, s9
	s_addc_u32 s25, s25, s28
	s_add_u32 s44, s20, s36
	s_addc_u32 s45, s21, s29
	;; [unrolled: 2-line block ×3, first 2 shown]
	s_add_u32 s20, s26, s42
	s_mul_hi_u32 s9, s59, s8
	s_addc_u32 s21, s27, s39
	s_add_i32 s9, s8, s9
	s_lshr_b32 s9, s9, s55
	s_mul_i32 s22, s9, s51
	s_sub_i32 s8, s8, s22
	s_mul_hi_u32 s22, s9, s58
	s_add_i32 s22, s9, s22
	s_lshr_b32 s22, s22, s54
	s_mul_i32 s23, s22, s50
	s_sub_i32 s9, s9, s23
	s_mul_hi_u32 s23, s22, s57
	s_add_i32 s23, s22, s23
	s_lshr_b32 s23, s23, s53
	s_mul_i32 s26, s23, s49
	s_sub_i32 s22, s22, s26
	s_mul_hi_u32 s26, s23, s56
	s_add_i32 s26, s23, s26
	s_lshr_b32 s26, s26, s52
	v_lshlrev_b32_e32 v1, 3, v0
	s_mul_i32 s26, s26, s48
	v_and_b32_e32 v21, 8, v1
	s_sub_i32 s23, s23, s26
	v_mul_lo_u32 v23, s62, v21
	s_mul_i32 s23, s23, s47
	v_mul_hi_u32 v1, v23, s33
	s_add_i32 s9, s9, s23
	v_add_u32_e32 v1, v23, v1
	s_lshl_b32 s23, s9, 7
	v_lshrrev_b32_e32 v4, s19, v1
	v_or_b32_e32 v22, s23, v19
	v_mul_lo_u32 v1, v4, s15
	v_sub_u32_e32 v5, v23, v1
	v_mul_hi_u32 v1, v22, s11
	v_add_u32_e32 v1, v22, v1
	v_lshrrev_b32_e32 v1, s31, v1
	v_mul_lo_u32 v2, v1, s10
	s_mul_i32 s22, s22, s64
	v_sub_u32_e32 v3, v22, v2
	v_mul_lo_u32 v2, v4, s34
	s_add_i32 s22, s8, s22
	v_mad_u64_u32 v[16:17], s[8:9], v3, s35, v[2:3]
	v_subrev_u32_e32 v2, s17, v16
	v_mul_lo_u32 v1, v1, s12
	v_mul_lo_u32 v2, v2, s13
	;; [unrolled: 1-line block ×3, first 2 shown]
	v_add3_u32 v6, v1, v3, v2
	v_lshrrev_b32_e32 v1, 5, v0
	v_lshlrev_b32_e32 v3, 1, v0
	v_lshlrev_b32_e32 v2, 6, v1
	v_and_b32_e32 v7, 0x1f8, v3
	v_sub_u32_e32 v2, v7, v2
	v_lshlrev_b32_e32 v0, 2, v0
	v_and_or_b32 v35, v0, 4, v2
	v_and_b32_e32 v0, 0x1fc, v3
	v_sub_u32_e32 v0, v0, v7
	v_lshl_add_u32 v36, v1, 3, v0
	s_lshl_b32 s12, s62, 2
	v_lshlrev_b32_e32 v0, 2, v36
	v_add_u32_e32 v18, s12, v23
	buffer_store_dword v34, off, s[0:3], 0 offset:64
	buffer_store_dword v36, off, s[0:3], 0 offset:68
	buffer_store_dword v34, off, s[0:3], 0 offset:72
	buffer_store_dword v35, off, s[0:3], 0 offset:76
	buffer_store_dword v0, off, s[0:3], 0 offset:80
	buffer_store_dword v34, off, s[0:3], 0 offset:84
	buffer_store_dword v36, off, s[0:3], 0 offset:88
	buffer_store_dword v34, off, s[0:3], 0 offset:96
	buffer_store_dword v34, off, s[0:3], 0 offset:92
	buffer_store_dword v34, off, s[0:3], 0 offset:100
	buffer_store_dword v36, off, s[0:3], 0 offset:104
	buffer_store_dword v34, off, s[0:3], 0 offset:108
	v_lshlrev_b32_e32 v0, 2, v35
	s_mov_b64 s[8:9], src_shared_base
	v_mul_hi_u32 v7, v18, s33
	buffer_store_dword v0, off, s[0:3], 0 offset:112
	buffer_store_dword v34, off, s[0:3], 0 offset:116
	;; [unrolled: 1-line block ×72, first 2 shown]
	v_mov_b32_e32 v0, s9
	v_mov_b32_e32 v1, 0x4000
	v_add_u32_e32 v7, v18, v7
	buffer_store_dword v0, off, s[0:3], 0 offset:404
	buffer_store_dword v34, off, s[0:3], 0 offset:400
	buffer_store_byte v34, off, s[0:3], 0 offset:409
	buffer_store_dword v0, off, s[0:3], 0 offset:420
	buffer_store_dword v1, off, s[0:3], 0 offset:416
	buffer_store_byte v34, off, s[0:3], 0 offset:425
	buffer_store_dword v0, off, s[0:3], 0 offset:436
	v_mov_b32_e32 v1, 0x2000
	v_lshrrev_b32_e32 v17, s19, v7
	buffer_store_dword v1, off, s[0:3], 0 offset:432
	buffer_store_byte v34, off, s[0:3], 0 offset:441
	buffer_store_dword v0, off, s[0:3], 0 offset:452
	v_mov_b32_e32 v0, 0x6000
	v_mul_lo_u32 v7, v17, s15
	buffer_store_dword v0, off, s[0:3], 0 offset:448
	buffer_store_byte v34, off, s[0:3], 0 offset:457
	s_mov_b32 s47, 0x20000
	v_sub_u32_e32 v24, v18, v7
	v_sub_u32_e32 v4, v17, v4
	buffer_load_dwordx4 v[0:3], v6, s[44:47], 0 offen
	v_sub_u32_e32 v5, v24, v5
	v_mul_lo_u32 v25, v4, s34
	v_mul_lo_u32 v4, v25, s13
	;; [unrolled: 1-line block ×3, first 2 shown]
	v_add3_u32 v26, v5, v4, v6
	s_lshl_b32 s27, s22, 7
	buffer_load_dwordx4 v[4:7], v26, s[44:47], 0 offen
	v_or_b32_e32 v27, s27, v19
	v_mul_lo_u32 v20, s61, v21
	v_mad_u64_u32 v[12:13], s[8:9], v27, s7, v[20:21]
	s_mov_b32 s31, s47
	buffer_load_dwordx4 v[8:11], v12, s[28:31], 0 offen
	s_lshl_b32 s36, s61, 2
	v_add_u32_e32 v28, s36, v12
	buffer_load_dwordx4 v[12:15], v28, s[28:31], 0 offen
	s_load_dword s38, s[4:5], 0xb4
	s_sub_i32 s37, s16, s18
	v_cmp_le_i32_e64 s[8:9], s17, v16
	v_cmp_gt_i32_e64 s[10:11], s37, v16
	s_and_b64 s[8:9], s[8:9], s[10:11]
	s_waitcnt lgkmcnt(0)
	v_cmp_gt_i32_e32 vcc, s38, v23
	v_cmp_gt_i32_e64 s[6:7], s6, v22
	s_and_b64 s[8:9], vcc, s[8:9]
	v_add_u32_e32 v38, v16, v25
	s_and_b64 vcc, s[6:7], s[8:9]
	v_cmp_le_i32_e64 s[8:9], s17, v38
	v_cmp_gt_i32_e64 s[10:11], s37, v38
	s_and_b64 s[8:9], s[8:9], s[10:11]
	v_lshlrev_b32_e32 v19, 2, v19
	s_mov_b32 s35, 0x3020104
	v_lshl_or_b32 v37, v21, 9, v19
	v_add_u32_e32 v39, s36, v20
	s_mul_i32 s61, s61, 12
	v_add_u32_e32 v16, s61, v28
	s_waitcnt vmcnt(3)
	v_cndmask_b32_e32 v3, 0, v3, vcc
	v_cndmask_b32_e32 v2, 0, v2, vcc
	;; [unrolled: 1-line block ×4, first 2 shown]
	v_cmp_gt_i32_e32 vcc, s38, v18
	s_and_b64 s[8:9], vcc, s[8:9]
	s_and_b64 vcc, s[6:7], s[8:9]
	v_perm_b32 v0, v0, v0, s35
	s_waitcnt vmcnt(2)
	v_cndmask_b32_e32 v7, 0, v7, vcc
	v_cndmask_b32_e32 v6, 0, v6, vcc
	;; [unrolled: 1-line block ×4, first 2 shown]
	v_cmp_gt_i32_e64 s[8:9], s60, v20
	v_cmp_gt_i32_e32 vcc, s63, v27
	ds_write2st64_b32 v37, v0, v1 offset1:2
	v_perm_b32 v0, v2, v2, s35
	s_and_b64 s[8:9], s[8:9], vcc
	ds_write2st64_b32 v37, v0, v3 offset0:4 offset1:6
	v_perm_b32 v0, v4, v4, s35
	s_waitcnt vmcnt(1)
	v_cndmask_b32_e64 v11, 0, v11, s[8:9]
	v_cndmask_b32_e64 v10, 0, v10, s[8:9]
	;; [unrolled: 1-line block ×4, first 2 shown]
	v_cmp_gt_i32_e64 s[8:9], s60, v39
	ds_write2st64_b32 v37, v0, v5 offset0:8 offset1:10
	v_perm_b32 v0, v6, v6, s35
	s_and_b64 s[8:9], s[8:9], vcc
	ds_write2st64_b32 v37, v0, v7 offset0:12 offset1:14
	v_perm_b32 v0, v8, v8, s35
	s_waitcnt vmcnt(0)
	v_cndmask_b32_e64 v12, 0, v12, s[8:9]
	ds_write2st64_b32 v37, v0, v9 offset0:64 offset1:66
	v_perm_b32 v0, v10, v10, s35
	v_cndmask_b32_e64 v14, 0, v14, s[8:9]
	v_cndmask_b32_e64 v13, 0, v13, s[8:9]
	ds_write2st64_b32 v37, v0, v11 offset0:68 offset1:70
	v_perm_b32 v0, v12, v12, s35
	v_cndmask_b32_e64 v15, 0, v15, s[8:9]
	ds_write2st64_b32 v37, v0, v13 offset0:72 offset1:74
	v_perm_b32 v0, v14, v14, s35
	ds_write2st64_b32 v37, v0, v15 offset0:76 offset1:78
	s_waitcnt lgkmcnt(0)
	s_barrier
	buffer_load_dword v20, off, s[0:3], 0 offset:80
	buffer_load_dword v25, off, s[0:3], 0 offset:112
	;; [unrolled: 1-line block ×4, first 2 shown]
	v_mad_u64_u32 v[32:33], s[8:9], s62, 12, v[18:19]
	v_mul_hi_u32 v0, v32, s33
	v_add_u32_e32 v0, v32, v0
	v_lshrrev_b32_e32 v2, s19, v0
	v_mul_lo_u32 v0, v2, s15
	v_sub_u32_e32 v0, v32, v0
	v_sub_u32_e32 v3, v2, v17
	;; [unrolled: 1-line block ×3, first 2 shown]
	v_mul_lo_u32 v33, v3, s34
	v_mul_lo_u32 v3, v33, s13
	;; [unrolled: 1-line block ×3, first 2 shown]
	v_add_u32_e32 v40, s12, v32
	v_add3_u32 v8, v1, v3, v26
	v_mul_hi_u32 v1, v40, s33
	v_add_u32_e32 v1, v40, v1
	v_lshrrev_b32_e32 v3, s19, v1
	v_mad_u64_u32 v[0:1], s[8:9], v3, s15, v[0:1]
	v_sub_u32_e32 v1, v3, v2
	v_sub_u32_e32 v0, v40, v0
	v_mul_lo_u32 v41, v1, s34
	v_mul_lo_u32 v1, v41, s13
	;; [unrolled: 1-line block ×3, first 2 shown]
	v_add3_u32 v9, v0, v1, v8
	buffer_load_dwordx4 v[0:3], v8, s[44:47], 0 offen
	buffer_load_dwordx4 v[4:7], v9, s[44:47], 0 offen
	v_add_u32_e32 v17, s36, v16
	buffer_load_dwordx4 v[8:11], v16, s[28:31], 0 offen
	buffer_load_dwordx4 v[12:15], v17, s[28:31], 0 offen
	s_nop 0
	buffer_store_dword v34, off, s[0:3], 0 offset:16
	buffer_store_dword v34, off, s[0:3], 0 offset:20
	;; [unrolled: 1-line block ×9, first 2 shown]
	buffer_load_dword v42, off, s[0:3], 0 offset:148
	buffer_load_dword v43, off, s[0:3], 0 offset:152
	;; [unrolled: 1-line block ×4, first 2 shown]
	v_add_u32_e32 v33, v38, v33
	v_cmp_gt_i32_e64 s[10:11], s37, v33
	v_add_u32_e32 v38, s61, v39
	s_mov_b64 s[18:19], src_private_base
	s_waitcnt vmcnt(20)
	ds_read_b128 v[16:19], v20
	buffer_store_dword v34, off, s[0:3], 0 offset:52
	buffer_store_dword v34, off, s[0:3], 0 offset:56
	buffer_store_dword v34, off, s[0:3], 0 offset:60
	s_waitcnt vmcnt(22)
	v_ashrrev_i32_e32 v24, 31, v25
	s_waitcnt vmcnt(21)
	v_add_co_u32_e64 v28, s[8:9], v27, v25
	ds_read_b128 v[20:23], v20 offset:256
	s_waitcnt lgkmcnt(1)
	buffer_store_dword v16, off, s[0:3], 0
	buffer_store_dword v17, off, s[0:3], 0 offset:4
	buffer_store_dword v18, off, s[0:3], 0 offset:8
	;; [unrolled: 1-line block ×3, first 2 shown]
	s_waitcnt vmcnt(24)
	v_addc_co_u32_e64 v29, s[8:9], v29, v24, s[8:9]
	flat_load_dwordx4 v[24:27], v[28:29]
	buffer_load_dword v46, off, s[0:3], 0 offset:188
	buffer_load_dword v47, off, s[0:3], 0 offset:144
	s_waitcnt vmcnt(0) lgkmcnt(0)
	buffer_store_dword v24, off, s[0:3], 0 offset:32
	buffer_store_dword v25, off, s[0:3], 0 offset:36
	;; [unrolled: 1-line block ×4, first 2 shown]
	v_cmp_le_i32_e64 s[8:9], s17, v33
	flat_load_dwordx4 v[28:31], v[28:29] offset:256
	s_load_dwordx2 s[12:13], s[4:5], 0x1a8
	s_load_dword s16, s[4:5], 0x1b4
	s_load_dword s28, s[4:5], 0x1c0
	;; [unrolled: 1-line block ×3, first 2 shown]
	buffer_load_dword v48, off, s[0:3], 0 offset:176
	buffer_load_dword v49, off, s[0:3], 0 offset:180
	;; [unrolled: 1-line block ×3, first 2 shown]
	s_load_dwordx2 s[14:15], s[4:5], 0x158
	s_load_dword s29, s[4:5], 0x164
	s_load_dword s33, s[4:5], 0x170
	;; [unrolled: 1-line block ×3, first 2 shown]
	v_cmp_gt_i32_e64 s[4:5], s38, v32
	s_and_b64 s[8:9], s[8:9], s[10:11]
	s_and_b64 s[4:5], s[4:5], s[8:9]
	;; [unrolled: 1-line block ×3, first 2 shown]
	v_cndmask_b32_e64 v58, 0, v0, s[4:5]
	v_add_u32_e32 v0, v33, v41
	v_cmp_le_i32_e64 s[8:9], s17, v0
	v_cmp_gt_i32_e64 s[10:11], s37, v0
	v_cndmask_b32_e64 v55, 0, v3, s[4:5]
	v_cndmask_b32_e64 v56, 0, v2, s[4:5]
	;; [unrolled: 1-line block ×3, first 2 shown]
	v_cmp_gt_i32_e64 s[4:5], s38, v40
	s_and_b64 s[8:9], s[8:9], s[10:11]
	s_and_b64 s[4:5], s[4:5], s[8:9]
	;; [unrolled: 1-line block ×3, first 2 shown]
	v_cndmask_b32_e64 v61, 0, v7, s[4:5]
	v_cndmask_b32_e64 v62, 0, v6, s[4:5]
	;; [unrolled: 1-line block ×4, first 2 shown]
	v_cmp_gt_i32_e64 s[4:5], s60, v38
	s_and_b64 s[4:5], s[4:5], vcc
	buffer_load_dword v32, off, s[0:3], 0 offset:208
	buffer_load_dword v39, off, s[0:3], 0 offset:212
	;; [unrolled: 1-line block ×21, first 2 shown]
	v_cndmask_b32_e64 v67, 0, v11, s[4:5]
	buffer_load_dword v11, off, s[0:3], 0 offset:264
	v_cndmask_b32_e64 v68, 0, v10, s[4:5]
	buffer_load_dword v10, off, s[0:3], 0 offset:268
	v_cndmask_b32_e64 v70, 0, v8, s[4:5]
	v_add_u32_e32 v8, s36, v38
	v_cndmask_b32_e64 v69, 0, v9, s[4:5]
	v_cmp_gt_i32_e64 s[4:5], s60, v8
	s_and_b64 vcc, s[4:5], vcc
	s_waitcnt vmcnt(0) lgkmcnt(0)
	buffer_store_dword v28, off, s[0:3], 0 offset:48
	buffer_store_dword v29, off, s[0:3], 0 offset:52
	;; [unrolled: 1-line block ×8, first 2 shown]
	v_dot4c_i32_i8_e32 v47, v16, v24
	v_dot4c_i32_i8_e32 v42, v16, v25
	;; [unrolled: 1-line block ×9, first 2 shown]
	v_mov_b32_e32 v8, 0x90
	v_mov_b32_e32 v9, s19
	v_cndmask_b32_e32 v38, 0, v15, vcc
	v_cndmask_b32_e32 v71, 0, v14, vcc
	;; [unrolled: 1-line block ×4, first 2 shown]
	buffer_store_dword v47, off, s[0:3], 0 offset:144
	buffer_store_dword v42, off, s[0:3], 0 offset:148
	;; [unrolled: 1-line block ×9, first 2 shown]
	v_dot4c_i32_i8_e32 v32, v18, v24
	v_dot4c_i32_i8_e32 v39, v18, v25
	;; [unrolled: 1-line block ×9, first 2 shown]
	buffer_store_dword v3, off, s[0:3], 0 offset:248
	v_dot4c_i32_i8_e32 v0, v17, v28
	buffer_store_dword v2, off, s[0:3], 0 offset:252
	buffer_store_dword v1, off, s[0:3], 0 offset:164
	v_dot4c_i32_i8_e32 v7, v18, v28
	v_dot4c_i32_i8_e32 v6, v18, v29
	;; [unrolled: 1-line block ×7, first 2 shown]
	buffer_store_dword v0, off, s[0:3], 0 offset:192
	v_dot4c_i32_i8_e32 v10, v19, v31
	v_dot4c_i32_i8_e32 v41, v17, v29
	v_dot4c_i32_i8_e32 v59, v17, v30
	v_dot4c_i32_i8_e32 v60, v17, v31
	buffer_store_dword v7, off, s[0:3], 0 offset:224
	buffer_store_dword v6, off, s[0:3], 0 offset:228
	;; [unrolled: 1-line block ×4, first 2 shown]
	v_dot4c_i32_i8_e32 v65, v19, v28
	v_dot4c_i32_i8_e32 v66, v19, v29
	buffer_store_dword v11, off, s[0:3], 0 offset:264
	buffer_store_dword v10, off, s[0:3], 0 offset:268
	v_mov_b32_e32 v0, 64
	v_mov_b32_e32 v1, s19
	;; [unrolled: 1-line block ×10, first 2 shown]
	buffer_store_dword v32, off, s[0:3], 0 offset:208
	buffer_store_dword v39, off, s[0:3], 0 offset:212
	;; [unrolled: 1-line block ×13, first 2 shown]
	s_getpc_b64 s[6:7]
	s_add_u32 s6, s6, _ZNK2ck6detail15static_for_implINS_8SequenceIJLi1ELi2ELi3ELi4ELi5ELi6ELi7ELi8ELi9ELi10ELi11ELi12ELi13ELi14ELi15EEEEEclIZNKS_80BlockwiseGemmDl_A_BK0_BM_BK1_B_BK0_BN_BK1_C_BM0_BM1_BN0_BN1_pipeline_BM0_2_BN0_2ILi256EaaiKNS_16TensorDescriptorINS_5TupleIJNS_5EmbedINS8_IJNS_17integral_constantIiLi16EEENSA_IiLi128EEENSA_IiLi4EEEEEENS8_IJNSA_IiLi512EEESD_NSA_IiLi1EEEEEELb0EEEEEENS8_IJNS2_IJLi0EEEEEEENS8_IJNS2_IJLi1ELi2ELi3EEEEEEESM_NSA_IlLl8192EEEEESQ_Li4ELi4ELi1ENS2_IJLi8ELi2EEEESR_Li4ELi4ELb0EE3RunINS7_INS8_IJNS_7UnMergeINS8_IJNSA_IiLi2EEESD_SV_SD_EEELb0EEEEEESL_NS8_IJNS2_IJLi1ELi2ELi3ELi4EEEEEEESZ_NSA_IlLl64EEEEENS_13DynamicBufferILNS_16AddressSpaceEnumE2EaSO_Lb1ELNS_22AmdBufferCoherenceEnumE0EiEES16_NS_12StaticBufferILS14_4EiLi64ELb1EEEEEvRKT_RKT0_RKT1_RT2_EUlS19_E_EEvS19_@rel32@lo+4
	s_addc_u32 s7, s7, _ZNK2ck6detail15static_for_implINS_8SequenceIJLi1ELi2ELi3ELi4ELi5ELi6ELi7ELi8ELi9ELi10ELi11ELi12ELi13ELi14ELi15EEEEEclIZNKS_80BlockwiseGemmDl_A_BK0_BM_BK1_B_BK0_BN_BK1_C_BM0_BM1_BN0_BN1_pipeline_BM0_2_BN0_2ILi256EaaiKNS_16TensorDescriptorINS_5TupleIJNS_5EmbedINS8_IJNS_17integral_constantIiLi16EEENSA_IiLi128EEENSA_IiLi4EEEEEENS8_IJNSA_IiLi512EEESD_NSA_IiLi1EEEEEELb0EEEEEENS8_IJNS2_IJLi0EEEEEEENS8_IJNS2_IJLi1ELi2ELi3EEEEEEESM_NSA_IlLl8192EEEEESQ_Li4ELi4ELi1ENS2_IJLi8ELi2EEEESR_Li4ELi4ELb0EE3RunINS7_INS8_IJNS_7UnMergeINS8_IJNSA_IiLi2EEESD_SV_SD_EEELb0EEEEEESL_NS8_IJNS2_IJLi1ELi2ELi3ELi4EEEEEEESZ_NSA_IlLl64EEEEENS_13DynamicBufferILNS_16AddressSpaceEnumE2EaSO_Lb1ELNS_22AmdBufferCoherenceEnumE0EiEES16_NS_12StaticBufferILS14_4EiLi64ELb1EEEEEvRKT_RKT0_RKT1_RT2_EUlS19_E_EEvS19_@rel32@hi+12
	s_swappc_b64 s[30:31], s[6:7]
	buffer_load_dword v0, off, s[0:3], 0 offset:32
	buffer_load_dword v1, off, s[0:3], 0 offset:36
	;; [unrolled: 1-line block ×46, first 2 shown]
	s_waitcnt vmcnt(39)
	v_dot4c_i32_i8_e32 v6, v4, v0
	s_waitcnt vmcnt(38)
	v_dot4c_i32_i8_e32 v7, v4, v1
	;; [unrolled: 2-line block ×15, first 2 shown]
	v_perm_b32 v2, v58, v58, s35
	s_waitcnt vmcnt(22)
	v_dot4c_i32_i8_e32 v23, v19, v3
	v_perm_b32 v3, v68, v68, s35
	s_waitcnt vmcnt(17)
	v_dot4c_i32_i8_e32 v28, v4, v24
	s_waitcnt vmcnt(16)
	v_dot4c_i32_i8_e32 v29, v4, v27
	;; [unrolled: 2-line block ×16, first 2 shown]
	buffer_store_dword v6, off, s[0:3], 0 offset:272
	buffer_store_dword v7, off, s[0:3], 0 offset:276
	;; [unrolled: 1-line block ×18, first 2 shown]
	s_waitcnt vmcnt(18)
	v_add_co_u32_e32 v0, vcc, v50, v37
	v_addc_co_u32_e32 v1, vcc, 0, v49, vcc
	buffer_store_dword v30, off, s[0:3], 0 offset:296
	buffer_store_dword v31, off, s[0:3], 0 offset:300
	;; [unrolled: 1-line block ×14, first 2 shown]
	flat_store_dword v[0:1], v2
	flat_store_dword v[0:1], v57 offset:512
	v_perm_b32 v2, v56, v56, s35
	flat_store_dword v[0:1], v2 offset:1024
	flat_store_dword v[0:1], v55 offset:1536
	v_perm_b32 v2, v64, v64, s35
	flat_store_dword v[0:1], v2 offset:2048
	;; [unrolled: 3-line block ×3, first 2 shown]
	flat_store_dword v[0:1], v61 offset:3584
	buffer_load_dword v4, off, s[0:3], 0 offset:448
	buffer_load_dword v5, off, s[0:3], 0 offset:452
	v_perm_b32 v2, v70, v70, s35
	v_perm_b32 v6, v73, v73, s35
	;; [unrolled: 1-line block ×3, first 2 shown]
	s_waitcnt vmcnt(0)
	v_add_co_u32_e32 v0, vcc, v4, v37
	v_addc_co_u32_e32 v1, vcc, 0, v5, vcc
	flat_store_dword v[0:1], v2
	flat_store_dword v[0:1], v69 offset:512
	flat_store_dword v[0:1], v3 offset:1024
	;; [unrolled: 1-line block ×7, first 2 shown]
	s_waitcnt lgkmcnt(0)
	s_barrier
	buffer_load_dword v0, off, s[0:3], 0 offset:80
	s_nop 0
	buffer_store_dword v34, off, s[0:3], 0
	buffer_store_dword v34, off, s[0:3], 0 offset:4
	buffer_store_dword v34, off, s[0:3], 0 offset:8
	buffer_store_dword v34, off, s[0:3], 0 offset:12
	buffer_store_dword v34, off, s[0:3], 0 offset:16
	buffer_store_dword v34, off, s[0:3], 0 offset:20
	buffer_store_dword v34, off, s[0:3], 0 offset:24
	buffer_store_dword v34, off, s[0:3], 0 offset:28
	buffer_store_dword v34, off, s[0:3], 0 offset:32
	buffer_store_dword v34, off, s[0:3], 0 offset:36
	buffer_store_dword v34, off, s[0:3], 0 offset:40
	buffer_store_dword v34, off, s[0:3], 0 offset:44
	buffer_store_dword v34, off, s[0:3], 0 offset:48
	buffer_store_dword v34, off, s[0:3], 0 offset:52
	buffer_store_dword v34, off, s[0:3], 0 offset:56
	buffer_store_dword v34, off, s[0:3], 0 offset:60
	buffer_load_dword v6, off, s[0:3], 0 offset:112
	buffer_load_dword v16, off, s[0:3], 0 offset:160
	;; [unrolled: 1-line block ×5, first 2 shown]
	s_waitcnt vmcnt(0)
	v_ashrrev_i32_e32 v7, 31, v6
	v_ashrrev_i32_e32 v1, 31, v0
	v_add_co_u32_e32 v12, vcc, v50, v0
	v_addc_co_u32_e32 v13, vcc, v49, v1, vcc
	flat_load_dwordx4 v[0:3], v[12:13]
	v_add_co_u32_e32 v8, vcc, v4, v6
	buffer_load_dword v20, off, s[0:3], 0 offset:192
	buffer_load_dword v21, off, s[0:3], 0 offset:196
	;; [unrolled: 1-line block ×3, first 2 shown]
	v_addc_co_u32_e32 v9, vcc, v5, v7, vcc
	s_waitcnt vmcnt(0) lgkmcnt(0)
	buffer_store_dword v0, off, s[0:3], 0
	buffer_store_dword v1, off, s[0:3], 0 offset:4
	buffer_store_dword v2, off, s[0:3], 0 offset:8
	;; [unrolled: 1-line block ×3, first 2 shown]
	flat_load_dwordx4 v[4:7], v[8:9]
	s_waitcnt vmcnt(0) lgkmcnt(0)
	buffer_store_dword v4, off, s[0:3], 0 offset:32
	buffer_store_dword v5, off, s[0:3], 0 offset:36
	;; [unrolled: 1-line block ×4, first 2 shown]
	flat_load_dwordx4 v[8:11], v[8:9] offset:256
	s_nop 0
	buffer_load_dword v23, off, s[0:3], 0 offset:144
	buffer_load_dword v24, off, s[0:3], 0 offset:148
	;; [unrolled: 1-line block ×25, first 2 shown]
	v_dot4c_i32_i8_e32 v19, v0, v7
	v_dot4c_i32_i8_e32 v22, v1, v7
	s_waitcnt vmcnt(0) lgkmcnt(0)
	buffer_store_dword v8, off, s[0:3], 0 offset:48
	buffer_store_dword v9, off, s[0:3], 0 offset:52
	;; [unrolled: 1-line block ×4, first 2 shown]
	flat_load_dwordx4 v[12:15], v[12:13] offset:256
	v_dot4c_i32_i8_e32 v23, v0, v4
	v_dot4c_i32_i8_e32 v24, v0, v5
	;; [unrolled: 1-line block ×30, first 2 shown]
	v_mov_b32_e32 v0, 64
	v_mov_b32_e32 v1, s19
	;; [unrolled: 1-line block ×12, first 2 shown]
	buffer_store_dword v23, off, s[0:3], 0 offset:144
	buffer_store_dword v24, off, s[0:3], 0 offset:148
	;; [unrolled: 1-line block ×32, first 2 shown]
	s_waitcnt vmcnt(0) lgkmcnt(0)
	buffer_store_dword v12, off, s[0:3], 0 offset:16
	buffer_store_dword v13, off, s[0:3], 0 offset:20
	buffer_store_dword v14, off, s[0:3], 0 offset:24
	buffer_store_dword v15, off, s[0:3], 0 offset:28
	s_swappc_b64 s[30:31], s[6:7]
	buffer_load_dword v19, off, s[0:3], 0 offset:32
	buffer_load_dword v33, off, s[0:3], 0 offset:36
	;; [unrolled: 1-line block ×57, first 2 shown]
	s_lshl_b32 s10, s15, 6
	s_lshl_b32 s8, s15, 7
	s_add_i32 s9, s10, s14
	s_sub_i32 s11, s9, s8
	s_waitcnt vmcnt(50)
	v_dot4c_i32_i8_e32 v25, v39, v19
	s_waitcnt vmcnt(49)
	v_dot4c_i32_i8_e32 v24, v39, v33
	;; [unrolled: 2-line block ×12, first 2 shown]
	buffer_store_dword v25, off, s[0:3], 0 offset:272
	buffer_store_dword v24, off, s[0:3], 0 offset:276
	;; [unrolled: 1-line block ×12, first 2 shown]
	s_waitcnt vmcnt(48)
	v_dot4c_i32_i8_e32 v0, v42, v19
	s_waitcnt vmcnt(47)
	v_dot4c_i32_i8_e32 v1, v42, v33
	v_add_u32_e32 v33, s27, v35
	v_add_u32_e32 v35, s23, v36
	s_waitcnt vmcnt(46)
	v_dot4c_i32_i8_e32 v2, v42, v37
	s_waitcnt vmcnt(45)
	v_dot4c_i32_i8_e32 v3, v42, v38
	;; [unrolled: 2-line block ×4, first 2 shown]
	v_mul_lo_u32 v36, v35, s14
	s_waitcnt vmcnt(39)
	v_dot4c_i32_i8_e32 v31, v39, v45
	buffer_store_dword v0, off, s[0:3], 0 offset:368
	s_waitcnt vmcnt(38)
	v_dot4c_i32_i8_e32 v32, v39, v46
	s_waitcnt vmcnt(37)
	v_dot4c_i32_i8_e32 v21, v40, v43
	s_waitcnt vmcnt(36)
	v_dot4c_i32_i8_e32 v22, v40, v44
	s_waitcnt vmcnt(35)
	v_dot4c_i32_i8_e32 v23, v40, v45
	s_waitcnt vmcnt(34)
	v_dot4c_i32_i8_e32 v28, v40, v46
	s_waitcnt vmcnt(33)
	v_dot4c_i32_i8_e32 v14, v41, v43
	s_waitcnt vmcnt(32)
	v_dot4c_i32_i8_e32 v15, v41, v44
	s_waitcnt vmcnt(31)
	v_dot4c_i32_i8_e32 v16, v41, v45
	s_waitcnt vmcnt(30)
	v_dot4c_i32_i8_e32 v17, v41, v46
	s_waitcnt vmcnt(29)
	v_dot4c_i32_i8_e32 v4, v42, v43
	s_waitcnt vmcnt(28)
	v_dot4c_i32_i8_e32 v5, v42, v44
	s_waitcnt vmcnt(27)
	v_dot4c_i32_i8_e32 v6, v42, v45
	s_waitcnt vmcnt(26)
	v_dot4c_i32_i8_e32 v7, v42, v46
	buffer_store_dword v1, off, s[0:3], 0 offset:372
	buffer_store_dword v2, off, s[0:3], 0 offset:376
	;; [unrolled: 1-line block ×19, first 2 shown]
	v_mad_u64_u32 v[36:37], s[4:5], v33, s15, v[36:37]
	s_mov_b32 s27, s47
	buffer_load_dword v19, v36, s[24:27], 0 offen
	v_cmp_gt_i32_e64 s[4:5], s33, v33
	v_cmp_gt_i32_e64 s[6:7], s29, v35
	s_and_b64 vcc, s[6:7], s[4:5]
	v_add_u32_e32 v36, s10, v36
	v_add_u32_e32 v41, 64, v33
	s_mov_b32 s23, s47
	s_waitcnt vmcnt(0)
	v_cndmask_b32_e32 v19, 0, v19, vcc
	v_add_u16_sdwa v37, v19, v47 dst_sel:DWORD dst_unused:UNUSED_PAD src0_sel:BYTE_3 src1_sel:DWORD
	v_add_u16_sdwa v38, v19, v48 dst_sel:DWORD dst_unused:UNUSED_PAD src0_sel:WORD_1 src1_sel:DWORD
	v_add_u16_sdwa v39, v19, v49 dst_sel:DWORD dst_unused:UNUSED_PAD src0_sel:BYTE_1 src1_sel:DWORD
	v_add_u16_e32 v19, v19, v50
	v_max_i16_sdwa v40, sext(v19), v34 dst_sel:DWORD dst_unused:UNUSED_PAD src0_sel:BYTE_0 src1_sel:DWORD
	v_max_i16_sdwa v39, sext(v39), v34 dst_sel:DWORD dst_unused:UNUSED_PAD src0_sel:BYTE_0 src1_sel:DWORD
	;; [unrolled: 1-line block ×4, first 2 shown]
	buffer_store_dword v40, off, s[0:3], 0 offset:144
	buffer_store_dword v37, off, s[0:3], 0 offset:156
	;; [unrolled: 1-line block ×4, first 2 shown]
	buffer_load_dword v19, v36, s[24:27], 0 offen
	v_cmp_gt_i32_e32 vcc, s33, v41
	s_and_b64 s[6:7], s[6:7], vcc
	v_add_u32_e32 v36, s11, v36
	s_waitcnt vmcnt(0)
	v_cndmask_b32_e64 v19, 0, v19, s[6:7]
	v_add_u16_e32 v42, v19, v52
	v_add_u16_sdwa v43, v19, v53 dst_sel:DWORD dst_unused:UNUSED_PAD src0_sel:BYTE_3 src1_sel:DWORD
	v_add_u16_sdwa v44, v19, v58 dst_sel:DWORD dst_unused:UNUSED_PAD src0_sel:WORD_1 src1_sel:DWORD
	v_add_u16_sdwa v19, v19, v51 dst_sel:DWORD dst_unused:UNUSED_PAD src0_sel:BYTE_1 src1_sel:DWORD
	v_max_i16_sdwa v42, sext(v42), v34 dst_sel:DWORD dst_unused:UNUSED_PAD src0_sel:BYTE_0 src1_sel:DWORD
	v_max_i16_sdwa v19, sext(v19), v34 dst_sel:DWORD dst_unused:UNUSED_PAD src0_sel:BYTE_0 src1_sel:DWORD
	;; [unrolled: 1-line block ×4, first 2 shown]
	buffer_store_dword v42, off, s[0:3], 0 offset:160
	buffer_store_dword v43, off, s[0:3], 0 offset:172
	;; [unrolled: 1-line block ×4, first 2 shown]
	buffer_load_dword v19, v36, s[24:27], 0 offen
	v_or_b32_e32 v42, 1, v35
	v_cmp_gt_i32_e64 s[6:7], s29, v42
	s_and_b64 s[8:9], s[6:7], s[4:5]
	v_add_u32_e32 v36, s10, v36
	s_and_b64 s[6:7], s[6:7], vcc
	s_waitcnt vmcnt(0)
	v_cndmask_b32_e64 v19, 0, v19, s[8:9]
	v_add_u16_e32 v43, v19, v54
	v_add_u16_sdwa v44, v19, v57 dst_sel:DWORD dst_unused:UNUSED_PAD src0_sel:BYTE_3 src1_sel:DWORD
	v_add_u16_sdwa v45, v19, v56 dst_sel:DWORD dst_unused:UNUSED_PAD src0_sel:WORD_1 src1_sel:DWORD
	v_add_u16_sdwa v19, v19, v55 dst_sel:DWORD dst_unused:UNUSED_PAD src0_sel:BYTE_1 src1_sel:DWORD
	v_max_i16_sdwa v43, sext(v43), v34 dst_sel:DWORD dst_unused:UNUSED_PAD src0_sel:BYTE_0 src1_sel:DWORD
	v_max_i16_sdwa v19, sext(v19), v34 dst_sel:DWORD dst_unused:UNUSED_PAD src0_sel:BYTE_0 src1_sel:DWORD
	;; [unrolled: 1-line block ×4, first 2 shown]
	buffer_store_dword v43, off, s[0:3], 0 offset:176
	buffer_store_dword v44, off, s[0:3], 0 offset:188
	;; [unrolled: 1-line block ×4, first 2 shown]
	buffer_load_dword v19, v36, s[24:27], 0 offen
	s_nop 0
	buffer_load_dword v43, off, s[0:3], 0 offset:192
	buffer_load_dword v44, off, s[0:3], 0 offset:204
	;; [unrolled: 1-line block ×8, first 2 shown]
	v_add_u32_e32 v36, s11, v36
	s_waitcnt vmcnt(8)
	v_cndmask_b32_e64 v19, 0, v19, s[6:7]
	s_waitcnt vmcnt(7)
	v_add_u16_e32 v43, v19, v43
	s_waitcnt vmcnt(6)
	v_add_u16_sdwa v44, v19, v44 dst_sel:DWORD dst_unused:UNUSED_PAD src0_sel:BYTE_3 src1_sel:DWORD
	s_waitcnt vmcnt(5)
	v_add_u16_sdwa v45, v19, v45 dst_sel:DWORD dst_unused:UNUSED_PAD src0_sel:WORD_1 src1_sel:DWORD
	s_waitcnt vmcnt(4)
	v_add_u16_sdwa v19, v19, v46 dst_sel:DWORD dst_unused:UNUSED_PAD src0_sel:BYTE_1 src1_sel:DWORD
	v_max_i16_sdwa v43, sext(v43), v34 dst_sel:DWORD dst_unused:UNUSED_PAD src0_sel:BYTE_0 src1_sel:DWORD
	v_max_i16_sdwa v19, sext(v19), v34 dst_sel:DWORD dst_unused:UNUSED_PAD src0_sel:BYTE_0 src1_sel:DWORD
	;; [unrolled: 1-line block ×4, first 2 shown]
	buffer_store_dword v43, off, s[0:3], 0 offset:192
	buffer_store_dword v44, off, s[0:3], 0 offset:204
	;; [unrolled: 1-line block ×4, first 2 shown]
	buffer_load_dword v19, v36, s[24:27], 0 offen
	v_or_b32_e32 v43, 2, v35
	v_cmp_gt_i32_e64 s[6:7], s29, v43
	s_and_b64 s[8:9], s[6:7], s[4:5]
	v_add_u32_e32 v36, s10, v36
	s_and_b64 s[6:7], s[6:7], vcc
	s_waitcnt vmcnt(0)
	v_cndmask_b32_e64 v19, 0, v19, s[8:9]
	v_add_u16_e32 v44, v19, v47
	v_add_u16_sdwa v45, v19, v50 dst_sel:DWORD dst_unused:UNUSED_PAD src0_sel:BYTE_3 src1_sel:DWORD
	v_add_u16_sdwa v46, v19, v49 dst_sel:DWORD dst_unused:UNUSED_PAD src0_sel:WORD_1 src1_sel:DWORD
	v_add_u16_sdwa v19, v19, v48 dst_sel:DWORD dst_unused:UNUSED_PAD src0_sel:BYTE_1 src1_sel:DWORD
	v_max_i16_sdwa v44, sext(v44), v34 dst_sel:DWORD dst_unused:UNUSED_PAD src0_sel:BYTE_0 src1_sel:DWORD
	v_max_i16_sdwa v19, sext(v19), v34 dst_sel:DWORD dst_unused:UNUSED_PAD src0_sel:BYTE_0 src1_sel:DWORD
	;; [unrolled: 1-line block ×4, first 2 shown]
	buffer_store_dword v44, off, s[0:3], 0 offset:208
	buffer_store_dword v45, off, s[0:3], 0 offset:220
	;; [unrolled: 1-line block ×4, first 2 shown]
	buffer_load_dword v19, v36, s[24:27], 0 offen
	s_nop 0
	buffer_load_dword v44, off, s[0:3], 0 offset:224
	buffer_load_dword v45, off, s[0:3], 0 offset:236
	;; [unrolled: 1-line block ×8, first 2 shown]
	v_add_u32_e32 v36, s11, v36
	s_waitcnt vmcnt(8)
	v_cndmask_b32_e64 v19, 0, v19, s[6:7]
	s_waitcnt vmcnt(7)
	v_add_u16_e32 v44, v19, v44
	s_waitcnt vmcnt(6)
	v_add_u16_sdwa v45, v19, v45 dst_sel:DWORD dst_unused:UNUSED_PAD src0_sel:BYTE_3 src1_sel:DWORD
	s_waitcnt vmcnt(5)
	v_add_u16_sdwa v46, v19, v46 dst_sel:DWORD dst_unused:UNUSED_PAD src0_sel:WORD_1 src1_sel:DWORD
	s_waitcnt vmcnt(4)
	v_add_u16_sdwa v19, v19, v47 dst_sel:DWORD dst_unused:UNUSED_PAD src0_sel:BYTE_1 src1_sel:DWORD
	v_max_i16_sdwa v44, sext(v44), v34 dst_sel:DWORD dst_unused:UNUSED_PAD src0_sel:BYTE_0 src1_sel:DWORD
	v_max_i16_sdwa v19, sext(v19), v34 dst_sel:DWORD dst_unused:UNUSED_PAD src0_sel:BYTE_0 src1_sel:DWORD
	;; [unrolled: 1-line block ×4, first 2 shown]
	buffer_store_dword v44, off, s[0:3], 0 offset:224
	buffer_store_dword v45, off, s[0:3], 0 offset:236
	;; [unrolled: 1-line block ×4, first 2 shown]
	buffer_load_dword v19, v36, s[24:27], 0 offen
	v_or_b32_e32 v44, 3, v35
	v_cmp_gt_i32_e64 s[6:7], s29, v44
	s_and_b64 s[8:9], s[6:7], s[4:5]
	v_add_u32_e32 v36, s10, v36
	s_and_b64 s[6:7], s[6:7], vcc
	s_waitcnt vmcnt(0)
	v_cndmask_b32_e64 v19, 0, v19, s[8:9]
	v_add_u16_e32 v45, v19, v48
	v_add_u16_sdwa v46, v19, v51 dst_sel:DWORD dst_unused:UNUSED_PAD src0_sel:BYTE_3 src1_sel:DWORD
	v_add_u16_sdwa v47, v19, v50 dst_sel:DWORD dst_unused:UNUSED_PAD src0_sel:WORD_1 src1_sel:DWORD
	v_add_u16_sdwa v19, v19, v49 dst_sel:DWORD dst_unused:UNUSED_PAD src0_sel:BYTE_1 src1_sel:DWORD
	v_max_i16_sdwa v45, sext(v45), v34 dst_sel:DWORD dst_unused:UNUSED_PAD src0_sel:BYTE_0 src1_sel:DWORD
	v_max_i16_sdwa v19, sext(v19), v34 dst_sel:DWORD dst_unused:UNUSED_PAD src0_sel:BYTE_0 src1_sel:DWORD
	;; [unrolled: 1-line block ×4, first 2 shown]
	buffer_store_dword v45, off, s[0:3], 0 offset:240
	buffer_store_dword v46, off, s[0:3], 0 offset:252
	;; [unrolled: 1-line block ×4, first 2 shown]
	buffer_load_dword v19, v36, s[24:27], 0 offen
	s_nop 0
	buffer_load_dword v45, off, s[0:3], 0 offset:256
	buffer_load_dword v46, off, s[0:3], 0 offset:264
	;; [unrolled: 1-line block ×3, first 2 shown]
	s_mul_i32 s8, s14, 60
	s_add_i32 s8, s11, s8
	v_add_u32_e32 v36, s8, v36
	s_lshl_b32 s14, s12, 6
	s_waitcnt vmcnt(3)
	v_cndmask_b32_e64 v19, 0, v19, s[6:7]
	s_waitcnt vmcnt(2)
	v_add_u16_e32 v45, v19, v45
	v_add_u16_sdwa v48, v19, v59 dst_sel:DWORD dst_unused:UNUSED_PAD src0_sel:BYTE_3 src1_sel:DWORD
	s_waitcnt vmcnt(1)
	v_add_u16_sdwa v46, v19, v46 dst_sel:DWORD dst_unused:UNUSED_PAD src0_sel:WORD_1 src1_sel:DWORD
	s_waitcnt vmcnt(0)
	v_add_u16_sdwa v19, v19, v47 dst_sel:DWORD dst_unused:UNUSED_PAD src0_sel:BYTE_1 src1_sel:DWORD
	v_max_i16_sdwa v45, sext(v45), v34 dst_sel:DWORD dst_unused:UNUSED_PAD src0_sel:BYTE_0 src1_sel:DWORD
	v_max_i16_sdwa v19, sext(v19), v34 dst_sel:DWORD dst_unused:UNUSED_PAD src0_sel:BYTE_0 src1_sel:DWORD
	;; [unrolled: 1-line block ×4, first 2 shown]
	buffer_store_dword v45, off, s[0:3], 0 offset:256
	buffer_store_dword v47, off, s[0:3], 0 offset:268
	;; [unrolled: 1-line block ×4, first 2 shown]
	buffer_load_dword v45, v36, s[24:27], 0 offen
	v_add_u32_e32 v19, 64, v35
	v_cmp_gt_i32_e64 s[6:7], s29, v19
	s_and_b64 s[8:9], s[6:7], s[4:5]
	v_add_u32_e32 v36, s10, v36
	s_and_b64 s[6:7], s[6:7], vcc
	s_waitcnt vmcnt(0)
	v_cndmask_b32_e64 v45, 0, v45, s[8:9]
	v_add_u16_e32 v25, v45, v25
	v_add_u16_sdwa v27, v45, v27 dst_sel:DWORD dst_unused:UNUSED_PAD src0_sel:BYTE_3 src1_sel:DWORD
	v_add_u16_sdwa v26, v45, v26 dst_sel:DWORD dst_unused:UNUSED_PAD src0_sel:WORD_1 src1_sel:DWORD
	v_add_u16_sdwa v24, v45, v24 dst_sel:DWORD dst_unused:UNUSED_PAD src0_sel:BYTE_1 src1_sel:DWORD
	v_max_i16_sdwa v25, sext(v25), v34 dst_sel:DWORD dst_unused:UNUSED_PAD src0_sel:BYTE_0 src1_sel:DWORD
	v_max_i16_sdwa v24, sext(v24), v34 dst_sel:DWORD dst_unused:UNUSED_PAD src0_sel:BYTE_0 src1_sel:DWORD
	;; [unrolled: 1-line block ×4, first 2 shown]
	buffer_store_dword v25, off, s[0:3], 0 offset:272
	buffer_store_dword v27, off, s[0:3], 0 offset:284
	;; [unrolled: 1-line block ×4, first 2 shown]
	buffer_load_dword v24, v36, s[24:27], 0 offen
	v_add_u32_e32 v25, s11, v36
	s_waitcnt vmcnt(0)
	v_cndmask_b32_e64 v24, 0, v24, s[6:7]
	v_add_u16_e32 v26, v24, v29
	v_add_u16_sdwa v27, v24, v32 dst_sel:DWORD dst_unused:UNUSED_PAD src0_sel:BYTE_3 src1_sel:DWORD
	v_add_u16_sdwa v29, v24, v31 dst_sel:DWORD dst_unused:UNUSED_PAD src0_sel:WORD_1 src1_sel:DWORD
	v_add_u16_sdwa v24, v24, v30 dst_sel:DWORD dst_unused:UNUSED_PAD src0_sel:BYTE_1 src1_sel:DWORD
	v_max_i16_sdwa v26, sext(v26), v34 dst_sel:DWORD dst_unused:UNUSED_PAD src0_sel:BYTE_0 src1_sel:DWORD
	v_max_i16_sdwa v24, sext(v24), v34 dst_sel:DWORD dst_unused:UNUSED_PAD src0_sel:BYTE_0 src1_sel:DWORD
	;; [unrolled: 1-line block ×4, first 2 shown]
	buffer_store_dword v26, off, s[0:3], 0 offset:288
	buffer_store_dword v27, off, s[0:3], 0 offset:300
	;; [unrolled: 1-line block ×4, first 2 shown]
	buffer_load_dword v26, v25, s[24:27], 0 offen
	v_add_u32_e32 v24, 0x41, v35
	v_cmp_gt_i32_e64 s[6:7], s29, v24
	s_and_b64 s[8:9], s[6:7], s[4:5]
	v_add_u32_e32 v25, s10, v25
	s_and_b64 s[6:7], s[6:7], vcc
	s_waitcnt vmcnt(0)
	v_cndmask_b32_e64 v26, 0, v26, s[8:9]
	v_add_u16_e32 v13, v26, v13
	v_add_u16_sdwa v20, v26, v20 dst_sel:DWORD dst_unused:UNUSED_PAD src0_sel:BYTE_3 src1_sel:DWORD
	v_add_u16_sdwa v18, v26, v18 dst_sel:DWORD dst_unused:UNUSED_PAD src0_sel:WORD_1 src1_sel:DWORD
	v_add_u16_sdwa v12, v26, v12 dst_sel:DWORD dst_unused:UNUSED_PAD src0_sel:BYTE_1 src1_sel:DWORD
	v_max_i16_sdwa v13, sext(v13), v34 dst_sel:DWORD dst_unused:UNUSED_PAD src0_sel:BYTE_0 src1_sel:DWORD
	v_max_i16_sdwa v12, sext(v12), v34 dst_sel:DWORD dst_unused:UNUSED_PAD src0_sel:BYTE_0 src1_sel:DWORD
	;; [unrolled: 1-line block ×4, first 2 shown]
	buffer_store_dword v13, off, s[0:3], 0 offset:304
	buffer_store_dword v20, off, s[0:3], 0 offset:316
	;; [unrolled: 1-line block ×4, first 2 shown]
	buffer_load_dword v12, v25, s[24:27], 0 offen
	v_add_u32_e32 v13, s11, v25
	s_waitcnt vmcnt(0)
	v_cndmask_b32_e64 v12, 0, v12, s[6:7]
	v_add_u16_e32 v18, v12, v21
	v_add_u16_sdwa v20, v12, v28 dst_sel:DWORD dst_unused:UNUSED_PAD src0_sel:BYTE_3 src1_sel:DWORD
	v_add_u16_sdwa v21, v12, v23 dst_sel:DWORD dst_unused:UNUSED_PAD src0_sel:WORD_1 src1_sel:DWORD
	v_add_u16_sdwa v12, v12, v22 dst_sel:DWORD dst_unused:UNUSED_PAD src0_sel:BYTE_1 src1_sel:DWORD
	v_max_i16_sdwa v18, sext(v18), v34 dst_sel:DWORD dst_unused:UNUSED_PAD src0_sel:BYTE_0 src1_sel:DWORD
	v_max_i16_sdwa v12, sext(v12), v34 dst_sel:DWORD dst_unused:UNUSED_PAD src0_sel:BYTE_0 src1_sel:DWORD
	;; [unrolled: 1-line block ×4, first 2 shown]
	buffer_store_dword v18, off, s[0:3], 0 offset:320
	buffer_store_dword v20, off, s[0:3], 0 offset:332
	;; [unrolled: 1-line block ×4, first 2 shown]
	buffer_load_dword v12, v13, s[24:27], 0 offen
	v_add_u32_e32 v18, 0x42, v35
	v_cmp_gt_i32_e64 s[6:7], s29, v18
	s_and_b64 s[8:9], s[6:7], s[4:5]
	v_add_u32_e32 v13, s10, v13
	s_and_b64 s[6:7], s[6:7], vcc
	s_waitcnt vmcnt(0)
	v_cndmask_b32_e64 v12, 0, v12, s[8:9]
	v_add_u16_e32 v8, v12, v8
	v_add_u16_sdwa v11, v12, v11 dst_sel:DWORD dst_unused:UNUSED_PAD src0_sel:BYTE_3 src1_sel:DWORD
	v_add_u16_sdwa v10, v12, v10 dst_sel:DWORD dst_unused:UNUSED_PAD src0_sel:WORD_1 src1_sel:DWORD
	v_add_u16_sdwa v9, v12, v9 dst_sel:DWORD dst_unused:UNUSED_PAD src0_sel:BYTE_1 src1_sel:DWORD
	v_max_i16_sdwa v8, sext(v8), v34 dst_sel:DWORD dst_unused:UNUSED_PAD src0_sel:BYTE_0 src1_sel:DWORD
	v_max_i16_sdwa v9, sext(v9), v34 dst_sel:DWORD dst_unused:UNUSED_PAD src0_sel:BYTE_0 src1_sel:DWORD
	;; [unrolled: 1-line block ×4, first 2 shown]
	buffer_store_dword v8, off, s[0:3], 0 offset:336
	buffer_store_dword v11, off, s[0:3], 0 offset:348
	;; [unrolled: 1-line block ×4, first 2 shown]
	buffer_load_dword v8, v13, s[24:27], 0 offen
	v_add_u32_e32 v9, s11, v13
	v_cmp_gt_i32_e64 s[8:9], s16, v35
	s_waitcnt vmcnt(0)
	v_cndmask_b32_e64 v8, 0, v8, s[6:7]
	v_add_u16_e32 v10, v8, v14
	v_add_u16_sdwa v11, v8, v17 dst_sel:DWORD dst_unused:UNUSED_PAD src0_sel:BYTE_3 src1_sel:DWORD
	v_add_u16_sdwa v12, v8, v16 dst_sel:DWORD dst_unused:UNUSED_PAD src0_sel:WORD_1 src1_sel:DWORD
	v_add_u16_sdwa v8, v8, v15 dst_sel:DWORD dst_unused:UNUSED_PAD src0_sel:BYTE_1 src1_sel:DWORD
	v_max_i16_sdwa v10, sext(v10), v34 dst_sel:DWORD dst_unused:UNUSED_PAD src0_sel:BYTE_0 src1_sel:DWORD
	v_max_i16_sdwa v8, sext(v8), v34 dst_sel:DWORD dst_unused:UNUSED_PAD src0_sel:BYTE_0 src1_sel:DWORD
	;; [unrolled: 1-line block ×4, first 2 shown]
	buffer_store_dword v10, off, s[0:3], 0 offset:352
	buffer_store_dword v11, off, s[0:3], 0 offset:364
	;; [unrolled: 1-line block ×4, first 2 shown]
	buffer_load_dword v8, v9, s[24:27], 0 offen
	v_add_u32_e32 v10, 0x43, v35
	v_cmp_gt_i32_e64 s[6:7], s29, v10
	s_and_b64 s[4:5], s[6:7], s[4:5]
	v_add_u32_e32 v9, s10, v9
	s_and_b64 vcc, s[6:7], vcc
	s_waitcnt vmcnt(0)
	v_cndmask_b32_e64 v8, 0, v8, s[4:5]
	v_add_u16_e32 v0, v8, v0
	v_add_u16_sdwa v3, v8, v3 dst_sel:DWORD dst_unused:UNUSED_PAD src0_sel:BYTE_3 src1_sel:DWORD
	v_add_u16_sdwa v2, v8, v2 dst_sel:DWORD dst_unused:UNUSED_PAD src0_sel:WORD_1 src1_sel:DWORD
	v_add_u16_sdwa v1, v8, v1 dst_sel:DWORD dst_unused:UNUSED_PAD src0_sel:BYTE_1 src1_sel:DWORD
	v_max_i16_sdwa v0, sext(v0), v34 dst_sel:DWORD dst_unused:UNUSED_PAD src0_sel:BYTE_0 src1_sel:DWORD
	v_max_i16_sdwa v1, sext(v1), v34 dst_sel:DWORD dst_unused:UNUSED_PAD src0_sel:BYTE_0 src1_sel:DWORD
	;; [unrolled: 1-line block ×4, first 2 shown]
	buffer_store_dword v0, off, s[0:3], 0 offset:368
	buffer_store_dword v3, off, s[0:3], 0 offset:380
	;; [unrolled: 1-line block ×4, first 2 shown]
	buffer_load_dword v2, v9, s[24:27], 0 offen
	v_mul_lo_u32 v0, v35, s12
	v_cmp_gt_i32_e64 s[4:5], s28, v33
	v_mad_u64_u32 v[0:1], s[10:11], v33, s13, v[0:1]
	v_bfrev_b32_e32 v3, 1
	s_and_b64 s[10:11], s[8:9], s[4:5]
	v_lshlrev_b16_e32 v8, 8, v39
	v_lshlrev_b16_e32 v9, 8, v37
	v_cndmask_b32_e64 v1, v3, 0, s[10:11]
	v_or_b32_e32 v8, v40, v8
	v_or_b32_sdwa v9, v38, v9 dst_sel:WORD_1 dst_unused:UNUSED_PAD src0_sel:DWORD src1_sel:DWORD
	v_add_u32_e32 v1, v1, v0
	v_or_b32_sdwa v8, v8, v9 dst_sel:DWORD dst_unused:UNUSED_PAD src0_sel:WORD_0 src1_sel:DWORD
	s_lshl_b32 s11, s13, 6
	s_mov_b32 s10, 0xc0c0500
	s_waitcnt vmcnt(0)
	v_cndmask_b32_e32 v2, 0, v2, vcc
	v_add_u16_e32 v4, v2, v4
	v_add_u16_sdwa v7, v2, v7 dst_sel:DWORD dst_unused:UNUSED_PAD src0_sel:BYTE_3 src1_sel:DWORD
	v_add_u16_sdwa v6, v2, v6 dst_sel:DWORD dst_unused:UNUSED_PAD src0_sel:WORD_1 src1_sel:DWORD
	v_add_u16_sdwa v2, v2, v5 dst_sel:DWORD dst_unused:UNUSED_PAD src0_sel:BYTE_1 src1_sel:DWORD
	v_max_i16_sdwa v4, sext(v4), v34 dst_sel:DWORD dst_unused:UNUSED_PAD src0_sel:BYTE_0 src1_sel:DWORD
	v_max_i16_sdwa v2, sext(v2), v34 dst_sel:DWORD dst_unused:UNUSED_PAD src0_sel:BYTE_0 src1_sel:DWORD
	v_max_i16_sdwa v5, sext(v6), v34 dst_sel:DWORD dst_unused:UNUSED_PAD src0_sel:BYTE_0 src1_sel:DWORD
	v_max_i16_sdwa v6, sext(v7), v34 dst_sel:DWORD dst_unused:UNUSED_PAD src0_sel:BYTE_0 src1_sel:DWORD
	buffer_store_dword v4, off, s[0:3], 0 offset:384
	buffer_store_dword v6, off, s[0:3], 0 offset:396
	;; [unrolled: 1-line block ×4, first 2 shown]
	buffer_store_dword v8, v1, s[20:23], 0 offen
	buffer_load_dword v1, off, s[0:3], 0 offset:164
	s_nop 0
	buffer_load_dword v2, off, s[0:3], 0 offset:168
	buffer_load_dword v4, off, s[0:3], 0 offset:172
	;; [unrolled: 1-line block ×3, first 2 shown]
	v_cmp_gt_i32_e32 vcc, s28, v41
	s_and_b64 s[6:7], s[8:9], vcc
	v_add_u32_e32 v6, s11, v0
	v_cndmask_b32_e64 v7, v3, 0, s[6:7]
	v_add_u32_e32 v7, v7, v6
	v_cmp_gt_i32_e64 s[6:7], s16, v42
	s_and_b64 s[8:9], s[6:7], vcc
	v_add_u32_e32 v6, s12, v6
	s_and_b64 s[6:7], s[6:7], s[4:5]
	v_add_u32_e32 v0, s12, v0
	s_waitcnt vmcnt(3)
	v_lshlrev_b32_e32 v1, 8, v1
	s_waitcnt vmcnt(2)
	v_lshlrev_b32_e32 v2, 16, v2
	;; [unrolled: 2-line block ×3, first 2 shown]
	v_and_b32_e32 v2, 0xff0000, v2
	s_waitcnt vmcnt(0)
	v_perm_b32 v1, v1, v5, s10
	v_or3_b32 v1, v1, v2, v4
	buffer_store_dword v1, v7, s[20:23], 0 offen
	buffer_load_dword v1, off, s[0:3], 0 offset:196
	s_nop 0
	buffer_load_dword v2, off, s[0:3], 0 offset:200
	buffer_load_dword v4, off, s[0:3], 0 offset:204
	;; [unrolled: 1-line block ×3, first 2 shown]
	v_cndmask_b32_e64 v7, v3, 0, s[8:9]
	v_add_u32_e32 v7, v7, v6
	v_add_u32_e32 v6, s12, v6
	s_waitcnt vmcnt(3)
	v_lshlrev_b32_e32 v1, 8, v1
	s_waitcnt vmcnt(2)
	v_lshlrev_b32_e32 v2, 16, v2
	s_waitcnt vmcnt(1)
	v_lshlrev_b32_e32 v4, 24, v4
	v_and_b32_e32 v2, 0xff0000, v2
	s_waitcnt vmcnt(0)
	v_perm_b32 v1, v1, v5, s10
	v_or3_b32 v1, v1, v2, v4
	buffer_store_dword v1, v7, s[20:23], 0 offen
	buffer_load_dword v1, off, s[0:3], 0 offset:180
	s_nop 0
	buffer_load_dword v2, off, s[0:3], 0 offset:184
	buffer_load_dword v4, off, s[0:3], 0 offset:188
	;; [unrolled: 1-line block ×3, first 2 shown]
	v_cndmask_b32_e64 v7, v3, 0, s[6:7]
	v_add_u32_e32 v7, v0, v7
	v_cmp_gt_i32_e64 s[6:7], s16, v43
	s_and_b64 s[8:9], s[6:7], s[4:5]
	s_and_b64 s[6:7], s[6:7], vcc
	s_waitcnt vmcnt(3)
	v_lshlrev_b32_e32 v1, 8, v1
	s_waitcnt vmcnt(2)
	v_lshlrev_b32_e32 v2, 16, v2
	;; [unrolled: 2-line block ×3, first 2 shown]
	v_and_b32_e32 v2, 0xff0000, v2
	s_waitcnt vmcnt(0)
	v_perm_b32 v1, v1, v5, s10
	v_or3_b32 v1, v1, v2, v4
	buffer_store_dword v1, v7, s[20:23], 0 offen
	buffer_load_dword v1, off, s[0:3], 0 offset:212
	s_nop 0
	buffer_load_dword v2, off, s[0:3], 0 offset:216
	buffer_load_dword v4, off, s[0:3], 0 offset:220
	;; [unrolled: 1-line block ×3, first 2 shown]
	v_cndmask_b32_e64 v7, v3, 0, s[8:9]
	v_add3_u32 v0, v7, s12, v0
	s_waitcnt vmcnt(3)
	v_lshlrev_b32_e32 v1, 8, v1
	s_waitcnt vmcnt(2)
	v_lshlrev_b32_e32 v2, 16, v2
	;; [unrolled: 2-line block ×3, first 2 shown]
	v_and_b32_e32 v2, 0xff0000, v2
	s_waitcnt vmcnt(0)
	v_perm_b32 v1, v1, v5, s10
	v_or3_b32 v1, v1, v2, v4
	buffer_store_dword v1, v0, s[20:23], 0 offen
	buffer_load_dword v0, off, s[0:3], 0 offset:228
	s_nop 0
	buffer_load_dword v1, off, s[0:3], 0 offset:232
	buffer_load_dword v2, off, s[0:3], 0 offset:236
	;; [unrolled: 1-line block ×3, first 2 shown]
	v_cndmask_b32_e64 v5, v3, 0, s[6:7]
	v_add_u32_e32 v5, v6, v5
	v_cmp_gt_i32_e64 s[6:7], s16, v44
	s_and_b64 s[8:9], s[6:7], vcc
	v_add_u32_e32 v6, s12, v6
	s_and_b64 s[6:7], s[6:7], s[4:5]
	s_waitcnt vmcnt(3)
	v_lshlrev_b32_e32 v0, 8, v0
	s_waitcnt vmcnt(2)
	v_lshlrev_b32_e32 v1, 16, v1
	;; [unrolled: 2-line block ×3, first 2 shown]
	v_and_b32_e32 v1, 0xff0000, v1
	s_waitcnt vmcnt(0)
	v_perm_b32 v0, v0, v4, s10
	v_or3_b32 v0, v0, v1, v2
	buffer_store_dword v0, v5, s[20:23], 0 offen
	buffer_load_dword v0, off, s[0:3], 0 offset:260
	s_nop 0
	buffer_load_dword v1, off, s[0:3], 0 offset:264
	buffer_load_dword v2, off, s[0:3], 0 offset:268
	;; [unrolled: 1-line block ×3, first 2 shown]
	v_cndmask_b32_e64 v5, v3, 0, s[8:9]
	v_add_u32_e32 v5, v6, v5
	v_subrev_u32_e32 v6, s11, v6
	s_waitcnt vmcnt(3)
	v_lshlrev_b32_e32 v0, 8, v0
	s_waitcnt vmcnt(2)
	v_lshlrev_b32_e32 v1, 16, v1
	;; [unrolled: 2-line block ×3, first 2 shown]
	v_and_b32_e32 v1, 0xff0000, v1
	s_waitcnt vmcnt(0)
	v_perm_b32 v0, v0, v4, s10
	v_or3_b32 v0, v0, v1, v2
	buffer_store_dword v0, v5, s[20:23], 0 offen
	buffer_load_dword v0, off, s[0:3], 0 offset:244
	s_nop 0
	buffer_load_dword v1, off, s[0:3], 0 offset:248
	buffer_load_dword v2, off, s[0:3], 0 offset:252
	;; [unrolled: 1-line block ×3, first 2 shown]
	v_cndmask_b32_e64 v5, v3, 0, s[6:7]
	v_add_u32_e32 v5, v6, v5
	v_cmp_gt_i32_e64 s[6:7], s16, v10
	s_and_b64 s[8:9], s[6:7], s[4:5]
	s_and_b64 s[6:7], s[6:7], vcc
	s_waitcnt vmcnt(3)
	v_lshlrev_b32_e32 v0, 8, v0
	s_waitcnt vmcnt(2)
	v_lshlrev_b32_e32 v1, 16, v1
	;; [unrolled: 2-line block ×3, first 2 shown]
	v_and_b32_e32 v1, 0xff0000, v1
	s_waitcnt vmcnt(0)
	v_perm_b32 v0, v0, v4, s10
	v_or3_b32 v0, v0, v1, v2
	buffer_store_dword v0, v5, s[20:23], 0 offen
	buffer_load_dword v0, off, s[0:3], 0 offset:372
	s_nop 0
	buffer_load_dword v1, off, s[0:3], 0 offset:376
	buffer_load_dword v2, off, s[0:3], 0 offset:380
	;; [unrolled: 1-line block ×3, first 2 shown]
	v_cndmask_b32_e64 v5, v3, 0, s[8:9]
	v_add3_u32 v5, v5, s14, v6
	s_add_i32 s8, s13, s12
	v_lshl_add_u32 v6, s8, 6, v6
	s_waitcnt vmcnt(3)
	v_lshlrev_b32_e32 v0, 8, v0
	s_waitcnt vmcnt(2)
	v_lshlrev_b32_e32 v1, 16, v1
	;; [unrolled: 2-line block ×3, first 2 shown]
	v_and_b32_e32 v1, 0xff0000, v1
	s_waitcnt vmcnt(0)
	v_perm_b32 v0, v0, v4, s10
	v_or3_b32 v0, v0, v1, v2
	buffer_store_dword v0, v5, s[20:23], 0 offen
	buffer_load_dword v0, off, s[0:3], 0 offset:388
	s_nop 0
	buffer_load_dword v1, off, s[0:3], 0 offset:392
	buffer_load_dword v2, off, s[0:3], 0 offset:396
	;; [unrolled: 1-line block ×3, first 2 shown]
	v_cndmask_b32_e64 v5, v3, 0, s[6:7]
	v_add_u32_e32 v5, v6, v5
	v_cmp_ge_i32_e64 s[6:7], s16, v10
	s_and_b64 s[6:7], s[6:7], vcc
	v_subrev_u32_e32 v6, s12, v6
	s_waitcnt vmcnt(3)
	v_lshlrev_b32_e32 v0, 8, v0
	s_waitcnt vmcnt(2)
	v_lshlrev_b32_e32 v1, 16, v1
	;; [unrolled: 2-line block ×3, first 2 shown]
	v_and_b32_e32 v1, 0xff0000, v1
	s_waitcnt vmcnt(0)
	v_perm_b32 v0, v0, v4, s10
	v_or3_b32 v0, v0, v1, v2
	buffer_store_dword v0, v5, s[20:23], 0 offen
	buffer_load_dword v0, off, s[0:3], 0 offset:356
	s_nop 0
	buffer_load_dword v1, off, s[0:3], 0 offset:360
	buffer_load_dword v2, off, s[0:3], 0 offset:364
	;; [unrolled: 1-line block ×3, first 2 shown]
	v_cndmask_b32_e64 v5, v3, 0, s[6:7]
	v_add_u32_e32 v5, v6, v5
	v_cmp_gt_i32_e64 s[6:7], s16, v18
	s_and_b64 s[6:7], s[6:7], s[4:5]
	v_subrev_u32_e32 v6, s11, v6
	s_waitcnt vmcnt(3)
	v_lshlrev_b32_e32 v0, 8, v0
	s_waitcnt vmcnt(2)
	v_lshlrev_b32_e32 v1, 16, v1
	;; [unrolled: 2-line block ×3, first 2 shown]
	v_and_b32_e32 v1, 0xff0000, v1
	s_waitcnt vmcnt(0)
	v_perm_b32 v0, v0, v4, s10
	v_or3_b32 v0, v0, v1, v2
	buffer_store_dword v0, v5, s[20:23], 0 offen
	buffer_load_dword v0, off, s[0:3], 0 offset:340
	s_nop 0
	buffer_load_dword v1, off, s[0:3], 0 offset:344
	buffer_load_dword v2, off, s[0:3], 0 offset:348
	;; [unrolled: 1-line block ×3, first 2 shown]
	v_cndmask_b32_e64 v5, v3, 0, s[6:7]
	v_add_u32_e32 v5, v6, v5
	v_cmp_ge_i32_e64 s[6:7], s16, v18
	s_and_b64 s[6:7], s[6:7], s[4:5]
	v_subrev_u32_e32 v6, s12, v6
	s_waitcnt vmcnt(3)
	v_lshlrev_b32_e32 v0, 8, v0
	s_waitcnt vmcnt(2)
	v_lshlrev_b32_e32 v1, 16, v1
	;; [unrolled: 2-line block ×3, first 2 shown]
	v_and_b32_e32 v1, 0xff0000, v1
	s_waitcnt vmcnt(0)
	v_perm_b32 v0, v0, v4, s10
	v_or3_b32 v0, v0, v1, v2
	buffer_store_dword v0, v5, s[20:23], 0 offen
	buffer_load_dword v0, off, s[0:3], 0 offset:308
	s_nop 0
	buffer_load_dword v1, off, s[0:3], 0 offset:312
	buffer_load_dword v2, off, s[0:3], 0 offset:316
	;; [unrolled: 1-line block ×3, first 2 shown]
	v_cndmask_b32_e64 v5, v3, 0, s[6:7]
	v_add_u32_e32 v5, v6, v5
	v_cmp_gt_i32_e64 s[6:7], s16, v24
	s_and_b64 s[6:7], s[6:7], vcc
	v_add_u32_e32 v6, s11, v6
	s_waitcnt vmcnt(3)
	v_lshlrev_b32_e32 v0, 8, v0
	s_waitcnt vmcnt(2)
	v_lshlrev_b32_e32 v1, 16, v1
	;; [unrolled: 2-line block ×3, first 2 shown]
	v_and_b32_e32 v1, 0xff0000, v1
	s_waitcnt vmcnt(0)
	v_perm_b32 v0, v0, v4, s10
	v_or3_b32 v0, v0, v1, v2
	buffer_store_dword v0, v5, s[20:23], 0 offen
	buffer_load_dword v0, off, s[0:3], 0 offset:324
	s_nop 0
	buffer_load_dword v1, off, s[0:3], 0 offset:328
	buffer_load_dword v2, off, s[0:3], 0 offset:332
	;; [unrolled: 1-line block ×3, first 2 shown]
	v_cndmask_b32_e64 v5, v3, 0, s[6:7]
	v_add_u32_e32 v5, v6, v5
	v_cmp_ge_i32_e64 s[6:7], s16, v24
	s_and_b64 s[6:7], s[6:7], vcc
	v_subrev_u32_e32 v6, s12, v6
	v_cmp_gt_i32_e32 vcc, s16, v19
	s_and_b64 s[4:5], vcc, s[4:5]
	s_waitcnt vmcnt(3)
	v_lshlrev_b32_e32 v0, 8, v0
	s_waitcnt vmcnt(2)
	v_lshlrev_b32_e32 v1, 16, v1
	s_waitcnt vmcnt(1)
	v_lshlrev_b32_e32 v2, 24, v2
	v_and_b32_e32 v1, 0xff0000, v1
	s_waitcnt vmcnt(0)
	v_perm_b32 v0, v0, v4, s10
	v_or3_b32 v0, v0, v1, v2
	buffer_store_dword v0, v5, s[20:23], 0 offen
	buffer_load_dword v0, off, s[0:3], 0 offset:292
	s_nop 0
	buffer_load_dword v1, off, s[0:3], 0 offset:296
	buffer_load_dword v2, off, s[0:3], 0 offset:300
	;; [unrolled: 1-line block ×3, first 2 shown]
	v_cndmask_b32_e64 v5, v3, 0, s[6:7]
	v_add_u32_e32 v5, v6, v5
	v_cndmask_b32_e64 v3, v3, 0, s[4:5]
	v_subrev_u32_e32 v3, s11, v3
	s_waitcnt vmcnt(3)
	v_lshlrev_b32_e32 v0, 8, v0
	s_waitcnt vmcnt(2)
	v_lshlrev_b32_e32 v1, 16, v1
	;; [unrolled: 2-line block ×3, first 2 shown]
	v_and_b32_e32 v1, 0xff0000, v1
	s_waitcnt vmcnt(0)
	v_perm_b32 v0, v0, v4, s10
	v_or3_b32 v0, v0, v1, v2
	buffer_store_dword v0, v5, s[20:23], 0 offen
	buffer_load_dword v0, off, s[0:3], 0 offset:276
	s_nop 0
	buffer_load_dword v1, off, s[0:3], 0 offset:280
	buffer_load_dword v2, off, s[0:3], 0 offset:284
	;; [unrolled: 1-line block ×3, first 2 shown]
	s_waitcnt vmcnt(3)
	v_lshlrev_b32_e32 v0, 8, v0
	s_waitcnt vmcnt(2)
	v_lshlrev_b32_e32 v1, 16, v1
	;; [unrolled: 2-line block ×3, first 2 shown]
	v_and_b32_e32 v1, 0xff0000, v1
	s_waitcnt vmcnt(0)
	v_perm_b32 v0, v0, v4, s10
	v_or3_b32 v0, v0, v1, v2
	v_add_u32_e32 v1, v3, v6
	buffer_store_dword v0, v1, s[20:23], 0 offen
	s_endpgm
	.section	.rodata,"a",@progbits
	.p2align	6, 0x0
	.amdhsa_kernel _ZN2ck16tensor_operation6device12_GLOBAL__N_137kernel_grouped_conv_fwd_dl_multiple_dINS_32GridwiseGemmDlMultipleD_km_kn_mnILi256EaiNS_5TupleIJaEEEaNS0_12element_wise11PassThroughES8_NS7_7AddReluELNS_25InMemoryDataOperationEnumE0ENS_16TensorDescriptorINS5_IJNS_5EmbedINS5_IJiiiEEESD_Lb0EEENS_11PassThroughIiEENS_3PadIiiiLb0EEESG_SG_NSC_INS5_IJiiEEESJ_Lb0EEESG_NS_23Merge_v2_magic_divisionISJ_EESM_NS_8RightPadIiiLb0EEESO_NS_7UnMergeISJ_Lb0EEESG_EEENS5_IJNS_8SequenceIJLi0EEEENSS_IJLi1EEEENSS_IJLi2EEEENSS_IJLi3EEEENSS_IJLi4EEEENSS_IJLi5EEEENSS_IJLi6EEEENSS_IJLi7ELi9EEEENSS_IJLi8ELi10EEEENSS_IJLi11EEEENSS_IJLi12EEEENSS_IJLi14EEEENSS_IJLi13EEEEEEENS5_IJNSS_IJLi1ELi2ELi3EEEESX_SY_SZ_NSS_IJLi7EEEENSS_IJLi8ELi9EEEENSS_IJLi10EEEES12_S13_S15_S14_NSS_IJLi15ELi16EEEENSS_IJLi17EEEEEEENSS_IJLi15ELi17ELi16EEEElEENSB_INS5_IJSQ_SO_SO_SQ_SG_EEENS5_IJST_SU_SV_SX_SW_EEENS5_IJNSS_IJLi1ELi2EEEESW_SX_NSS_IJLi5ELi6EEEES18_EEENSS_IJLi5ELi7ELi6EEEElEENSB_INS5_IJSK_SO_SO_EEENS5_IJST_SU_SV_EEENS5_IJS1I_SW_SX_EEENSS_IJLi3ELi4EEEElEELi128ELi128ELi16ELi4ELi4ELi4ELi1ENSS_IJLi8ELi2EEEES1S_NSS_IJLi8ELi1ELi1ELi4EEEENSS_IJLi2ELi1ELi128ELi1EEEENSS_IJLi1ELi2ELi0ELi3EEEES1V_NSS_IJLi4ELi1ELi1ELi4EEEES1V_NSS_IJLi1ELi1ELi1ELi4EEEES1T_S1U_S1V_S1V_S1W_S1V_S1X_NSS_IJLi0ELi1ELi2ELi3ELi4ELi5EEEELi5ELi4EEEaNS5_IJPKaEEEaS8_S8_S9_NSB_INS5_IJSE_SG_SI_SG_SG_SK_SG_SM_SM_SO_SO_SQ_SG_SG_NSP_INS5_IJiNS_17integral_constantIiLi128EEEEEELb0EEENSF_INS23_IiLi4EEEEEEEENS5_IJST_SU_SV_SW_SX_SY_SZ_S10_S11_S12_S13_S14_S15_NSS_IJLi15EEEES1C_NSS_IJLi16EEEEEEENS5_IJS17_SX_SY_SZ_S18_S19_S1A_S12_S13_S15_S14_S1B_S1C_NSS_IJLi18EEEENSS_IJLi19ELi20EEEENSS_IJLi21EEEEEEENSS_IJLi18ELi19ELi20ELi21EEEElEENSB_INS5_IJSQ_SO_SO_SQ_SG_SG_S26_S28_EEENS5_IJST_SU_SV_SX_SW_SY_S18_SZ_EEENS5_IJS1I_SW_SX_S1J_S18_NSS_IJLi8EEEENSS_IJLi9ELi10EEEES12_EEENSS_IJLi8ELi9ELi10ELi11EEEElEENS5_IJNSB_INS5_IJSK_SO_SO_NSP_INS5_IJiNS23_IiLi2EEENS23_IiLi64EEEEEELb0EEES2T_EEENS5_IJST_SU_SV_SW_SX_EEENS5_IJS1I_SW_SX_NSS_IJLi5ELi6ELi7EEEENSS_IJLi8ELi9ELi10EEEEEEENSS_IJLi5ELi6ELi7ELi8ELi9ELi10EEEElEEEEES30_NS_31BlockToCTileMap_M00_N00_M01_N01ILi128ELi128ES1R_Lb0EEENS1_30ComputePtrOffsetOfStridedBatchILi1ELi1ELi1EvEELb0ELb1EEEvPKT0_S38_T1_PT2_T3_T4_T5_iT6_T7_T8_T9_T10_T11_
		.amdhsa_group_segment_fixed_size 32768
		.amdhsa_private_segment_fixed_size 480
		.amdhsa_kernarg_size 904
		.amdhsa_user_sgpr_count 8
		.amdhsa_user_sgpr_private_segment_buffer 1
		.amdhsa_user_sgpr_dispatch_ptr 0
		.amdhsa_user_sgpr_queue_ptr 0
		.amdhsa_user_sgpr_kernarg_segment_ptr 1
		.amdhsa_user_sgpr_dispatch_id 0
		.amdhsa_user_sgpr_flat_scratch_init 1
		.amdhsa_user_sgpr_kernarg_preload_length 0
		.amdhsa_user_sgpr_kernarg_preload_offset 0
		.amdhsa_user_sgpr_private_segment_size 0
		.amdhsa_uses_dynamic_stack 0
		.amdhsa_system_sgpr_private_segment_wavefront_offset 1
		.amdhsa_system_sgpr_workgroup_id_x 1
		.amdhsa_system_sgpr_workgroup_id_y 0
		.amdhsa_system_sgpr_workgroup_id_z 0
		.amdhsa_system_sgpr_workgroup_info 0
		.amdhsa_system_vgpr_workitem_id 0
		.amdhsa_next_free_vgpr 74
		.amdhsa_next_free_sgpr 66
		.amdhsa_accum_offset 76
		.amdhsa_reserve_vcc 1
		.amdhsa_reserve_flat_scratch 1
		.amdhsa_float_round_mode_32 0
		.amdhsa_float_round_mode_16_64 0
		.amdhsa_float_denorm_mode_32 3
		.amdhsa_float_denorm_mode_16_64 3
		.amdhsa_dx10_clamp 1
		.amdhsa_ieee_mode 1
		.amdhsa_fp16_overflow 0
		.amdhsa_tg_split 0
		.amdhsa_exception_fp_ieee_invalid_op 0
		.amdhsa_exception_fp_denorm_src 0
		.amdhsa_exception_fp_ieee_div_zero 0
		.amdhsa_exception_fp_ieee_overflow 0
		.amdhsa_exception_fp_ieee_underflow 0
		.amdhsa_exception_fp_ieee_inexact 0
		.amdhsa_exception_int_div_zero 0
	.end_amdhsa_kernel
	.section	.text._ZN2ck16tensor_operation6device12_GLOBAL__N_137kernel_grouped_conv_fwd_dl_multiple_dINS_32GridwiseGemmDlMultipleD_km_kn_mnILi256EaiNS_5TupleIJaEEEaNS0_12element_wise11PassThroughES8_NS7_7AddReluELNS_25InMemoryDataOperationEnumE0ENS_16TensorDescriptorINS5_IJNS_5EmbedINS5_IJiiiEEESD_Lb0EEENS_11PassThroughIiEENS_3PadIiiiLb0EEESG_SG_NSC_INS5_IJiiEEESJ_Lb0EEESG_NS_23Merge_v2_magic_divisionISJ_EESM_NS_8RightPadIiiLb0EEESO_NS_7UnMergeISJ_Lb0EEESG_EEENS5_IJNS_8SequenceIJLi0EEEENSS_IJLi1EEEENSS_IJLi2EEEENSS_IJLi3EEEENSS_IJLi4EEEENSS_IJLi5EEEENSS_IJLi6EEEENSS_IJLi7ELi9EEEENSS_IJLi8ELi10EEEENSS_IJLi11EEEENSS_IJLi12EEEENSS_IJLi14EEEENSS_IJLi13EEEEEEENS5_IJNSS_IJLi1ELi2ELi3EEEESX_SY_SZ_NSS_IJLi7EEEENSS_IJLi8ELi9EEEENSS_IJLi10EEEES12_S13_S15_S14_NSS_IJLi15ELi16EEEENSS_IJLi17EEEEEEENSS_IJLi15ELi17ELi16EEEElEENSB_INS5_IJSQ_SO_SO_SQ_SG_EEENS5_IJST_SU_SV_SX_SW_EEENS5_IJNSS_IJLi1ELi2EEEESW_SX_NSS_IJLi5ELi6EEEES18_EEENSS_IJLi5ELi7ELi6EEEElEENSB_INS5_IJSK_SO_SO_EEENS5_IJST_SU_SV_EEENS5_IJS1I_SW_SX_EEENSS_IJLi3ELi4EEEElEELi128ELi128ELi16ELi4ELi4ELi4ELi1ENSS_IJLi8ELi2EEEES1S_NSS_IJLi8ELi1ELi1ELi4EEEENSS_IJLi2ELi1ELi128ELi1EEEENSS_IJLi1ELi2ELi0ELi3EEEES1V_NSS_IJLi4ELi1ELi1ELi4EEEES1V_NSS_IJLi1ELi1ELi1ELi4EEEES1T_S1U_S1V_S1V_S1W_S1V_S1X_NSS_IJLi0ELi1ELi2ELi3ELi4ELi5EEEELi5ELi4EEEaNS5_IJPKaEEEaS8_S8_S9_NSB_INS5_IJSE_SG_SI_SG_SG_SK_SG_SM_SM_SO_SO_SQ_SG_SG_NSP_INS5_IJiNS_17integral_constantIiLi128EEEEEELb0EEENSF_INS23_IiLi4EEEEEEEENS5_IJST_SU_SV_SW_SX_SY_SZ_S10_S11_S12_S13_S14_S15_NSS_IJLi15EEEES1C_NSS_IJLi16EEEEEEENS5_IJS17_SX_SY_SZ_S18_S19_S1A_S12_S13_S15_S14_S1B_S1C_NSS_IJLi18EEEENSS_IJLi19ELi20EEEENSS_IJLi21EEEEEEENSS_IJLi18ELi19ELi20ELi21EEEElEENSB_INS5_IJSQ_SO_SO_SQ_SG_SG_S26_S28_EEENS5_IJST_SU_SV_SX_SW_SY_S18_SZ_EEENS5_IJS1I_SW_SX_S1J_S18_NSS_IJLi8EEEENSS_IJLi9ELi10EEEES12_EEENSS_IJLi8ELi9ELi10ELi11EEEElEENS5_IJNSB_INS5_IJSK_SO_SO_NSP_INS5_IJiNS23_IiLi2EEENS23_IiLi64EEEEEELb0EEES2T_EEENS5_IJST_SU_SV_SW_SX_EEENS5_IJS1I_SW_SX_NSS_IJLi5ELi6ELi7EEEENSS_IJLi8ELi9ELi10EEEEEEENSS_IJLi5ELi6ELi7ELi8ELi9ELi10EEEElEEEEES30_NS_31BlockToCTileMap_M00_N00_M01_N01ILi128ELi128ES1R_Lb0EEENS1_30ComputePtrOffsetOfStridedBatchILi1ELi1ELi1EvEELb0ELb1EEEvPKT0_S38_T1_PT2_T3_T4_T5_iT6_T7_T8_T9_T10_T11_,"axG",@progbits,_ZN2ck16tensor_operation6device12_GLOBAL__N_137kernel_grouped_conv_fwd_dl_multiple_dINS_32GridwiseGemmDlMultipleD_km_kn_mnILi256EaiNS_5TupleIJaEEEaNS0_12element_wise11PassThroughES8_NS7_7AddReluELNS_25InMemoryDataOperationEnumE0ENS_16TensorDescriptorINS5_IJNS_5EmbedINS5_IJiiiEEESD_Lb0EEENS_11PassThroughIiEENS_3PadIiiiLb0EEESG_SG_NSC_INS5_IJiiEEESJ_Lb0EEESG_NS_23Merge_v2_magic_divisionISJ_EESM_NS_8RightPadIiiLb0EEESO_NS_7UnMergeISJ_Lb0EEESG_EEENS5_IJNS_8SequenceIJLi0EEEENSS_IJLi1EEEENSS_IJLi2EEEENSS_IJLi3EEEENSS_IJLi4EEEENSS_IJLi5EEEENSS_IJLi6EEEENSS_IJLi7ELi9EEEENSS_IJLi8ELi10EEEENSS_IJLi11EEEENSS_IJLi12EEEENSS_IJLi14EEEENSS_IJLi13EEEEEEENS5_IJNSS_IJLi1ELi2ELi3EEEESX_SY_SZ_NSS_IJLi7EEEENSS_IJLi8ELi9EEEENSS_IJLi10EEEES12_S13_S15_S14_NSS_IJLi15ELi16EEEENSS_IJLi17EEEEEEENSS_IJLi15ELi17ELi16EEEElEENSB_INS5_IJSQ_SO_SO_SQ_SG_EEENS5_IJST_SU_SV_SX_SW_EEENS5_IJNSS_IJLi1ELi2EEEESW_SX_NSS_IJLi5ELi6EEEES18_EEENSS_IJLi5ELi7ELi6EEEElEENSB_INS5_IJSK_SO_SO_EEENS5_IJST_SU_SV_EEENS5_IJS1I_SW_SX_EEENSS_IJLi3ELi4EEEElEELi128ELi128ELi16ELi4ELi4ELi4ELi1ENSS_IJLi8ELi2EEEES1S_NSS_IJLi8ELi1ELi1ELi4EEEENSS_IJLi2ELi1ELi128ELi1EEEENSS_IJLi1ELi2ELi0ELi3EEEES1V_NSS_IJLi4ELi1ELi1ELi4EEEES1V_NSS_IJLi1ELi1ELi1ELi4EEEES1T_S1U_S1V_S1V_S1W_S1V_S1X_NSS_IJLi0ELi1ELi2ELi3ELi4ELi5EEEELi5ELi4EEEaNS5_IJPKaEEEaS8_S8_S9_NSB_INS5_IJSE_SG_SI_SG_SG_SK_SG_SM_SM_SO_SO_SQ_SG_SG_NSP_INS5_IJiNS_17integral_constantIiLi128EEEEEELb0EEENSF_INS23_IiLi4EEEEEEEENS5_IJST_SU_SV_SW_SX_SY_SZ_S10_S11_S12_S13_S14_S15_NSS_IJLi15EEEES1C_NSS_IJLi16EEEEEEENS5_IJS17_SX_SY_SZ_S18_S19_S1A_S12_S13_S15_S14_S1B_S1C_NSS_IJLi18EEEENSS_IJLi19ELi20EEEENSS_IJLi21EEEEEEENSS_IJLi18ELi19ELi20ELi21EEEElEENSB_INS5_IJSQ_SO_SO_SQ_SG_SG_S26_S28_EEENS5_IJST_SU_SV_SX_SW_SY_S18_SZ_EEENS5_IJS1I_SW_SX_S1J_S18_NSS_IJLi8EEEENSS_IJLi9ELi10EEEES12_EEENSS_IJLi8ELi9ELi10ELi11EEEElEENS5_IJNSB_INS5_IJSK_SO_SO_NSP_INS5_IJiNS23_IiLi2EEENS23_IiLi64EEEEEELb0EEES2T_EEENS5_IJST_SU_SV_SW_SX_EEENS5_IJS1I_SW_SX_NSS_IJLi5ELi6ELi7EEEENSS_IJLi8ELi9ELi10EEEEEEENSS_IJLi5ELi6ELi7ELi8ELi9ELi10EEEElEEEEES30_NS_31BlockToCTileMap_M00_N00_M01_N01ILi128ELi128ES1R_Lb0EEENS1_30ComputePtrOffsetOfStridedBatchILi1ELi1ELi1EvEELb0ELb1EEEvPKT0_S38_T1_PT2_T3_T4_T5_iT6_T7_T8_T9_T10_T11_,comdat
.Lfunc_end4:
	.size	_ZN2ck16tensor_operation6device12_GLOBAL__N_137kernel_grouped_conv_fwd_dl_multiple_dINS_32GridwiseGemmDlMultipleD_km_kn_mnILi256EaiNS_5TupleIJaEEEaNS0_12element_wise11PassThroughES8_NS7_7AddReluELNS_25InMemoryDataOperationEnumE0ENS_16TensorDescriptorINS5_IJNS_5EmbedINS5_IJiiiEEESD_Lb0EEENS_11PassThroughIiEENS_3PadIiiiLb0EEESG_SG_NSC_INS5_IJiiEEESJ_Lb0EEESG_NS_23Merge_v2_magic_divisionISJ_EESM_NS_8RightPadIiiLb0EEESO_NS_7UnMergeISJ_Lb0EEESG_EEENS5_IJNS_8SequenceIJLi0EEEENSS_IJLi1EEEENSS_IJLi2EEEENSS_IJLi3EEEENSS_IJLi4EEEENSS_IJLi5EEEENSS_IJLi6EEEENSS_IJLi7ELi9EEEENSS_IJLi8ELi10EEEENSS_IJLi11EEEENSS_IJLi12EEEENSS_IJLi14EEEENSS_IJLi13EEEEEEENS5_IJNSS_IJLi1ELi2ELi3EEEESX_SY_SZ_NSS_IJLi7EEEENSS_IJLi8ELi9EEEENSS_IJLi10EEEES12_S13_S15_S14_NSS_IJLi15ELi16EEEENSS_IJLi17EEEEEEENSS_IJLi15ELi17ELi16EEEElEENSB_INS5_IJSQ_SO_SO_SQ_SG_EEENS5_IJST_SU_SV_SX_SW_EEENS5_IJNSS_IJLi1ELi2EEEESW_SX_NSS_IJLi5ELi6EEEES18_EEENSS_IJLi5ELi7ELi6EEEElEENSB_INS5_IJSK_SO_SO_EEENS5_IJST_SU_SV_EEENS5_IJS1I_SW_SX_EEENSS_IJLi3ELi4EEEElEELi128ELi128ELi16ELi4ELi4ELi4ELi1ENSS_IJLi8ELi2EEEES1S_NSS_IJLi8ELi1ELi1ELi4EEEENSS_IJLi2ELi1ELi128ELi1EEEENSS_IJLi1ELi2ELi0ELi3EEEES1V_NSS_IJLi4ELi1ELi1ELi4EEEES1V_NSS_IJLi1ELi1ELi1ELi4EEEES1T_S1U_S1V_S1V_S1W_S1V_S1X_NSS_IJLi0ELi1ELi2ELi3ELi4ELi5EEEELi5ELi4EEEaNS5_IJPKaEEEaS8_S8_S9_NSB_INS5_IJSE_SG_SI_SG_SG_SK_SG_SM_SM_SO_SO_SQ_SG_SG_NSP_INS5_IJiNS_17integral_constantIiLi128EEEEEELb0EEENSF_INS23_IiLi4EEEEEEEENS5_IJST_SU_SV_SW_SX_SY_SZ_S10_S11_S12_S13_S14_S15_NSS_IJLi15EEEES1C_NSS_IJLi16EEEEEEENS5_IJS17_SX_SY_SZ_S18_S19_S1A_S12_S13_S15_S14_S1B_S1C_NSS_IJLi18EEEENSS_IJLi19ELi20EEEENSS_IJLi21EEEEEEENSS_IJLi18ELi19ELi20ELi21EEEElEENSB_INS5_IJSQ_SO_SO_SQ_SG_SG_S26_S28_EEENS5_IJST_SU_SV_SX_SW_SY_S18_SZ_EEENS5_IJS1I_SW_SX_S1J_S18_NSS_IJLi8EEEENSS_IJLi9ELi10EEEES12_EEENSS_IJLi8ELi9ELi10ELi11EEEElEENS5_IJNSB_INS5_IJSK_SO_SO_NSP_INS5_IJiNS23_IiLi2EEENS23_IiLi64EEEEEELb0EEES2T_EEENS5_IJST_SU_SV_SW_SX_EEENS5_IJS1I_SW_SX_NSS_IJLi5ELi6ELi7EEEENSS_IJLi8ELi9ELi10EEEEEEENSS_IJLi5ELi6ELi7ELi8ELi9ELi10EEEElEEEEES30_NS_31BlockToCTileMap_M00_N00_M01_N01ILi128ELi128ES1R_Lb0EEENS1_30ComputePtrOffsetOfStridedBatchILi1ELi1ELi1EvEELb0ELb1EEEvPKT0_S38_T1_PT2_T3_T4_T5_iT6_T7_T8_T9_T10_T11_, .Lfunc_end4-_ZN2ck16tensor_operation6device12_GLOBAL__N_137kernel_grouped_conv_fwd_dl_multiple_dINS_32GridwiseGemmDlMultipleD_km_kn_mnILi256EaiNS_5TupleIJaEEEaNS0_12element_wise11PassThroughES8_NS7_7AddReluELNS_25InMemoryDataOperationEnumE0ENS_16TensorDescriptorINS5_IJNS_5EmbedINS5_IJiiiEEESD_Lb0EEENS_11PassThroughIiEENS_3PadIiiiLb0EEESG_SG_NSC_INS5_IJiiEEESJ_Lb0EEESG_NS_23Merge_v2_magic_divisionISJ_EESM_NS_8RightPadIiiLb0EEESO_NS_7UnMergeISJ_Lb0EEESG_EEENS5_IJNS_8SequenceIJLi0EEEENSS_IJLi1EEEENSS_IJLi2EEEENSS_IJLi3EEEENSS_IJLi4EEEENSS_IJLi5EEEENSS_IJLi6EEEENSS_IJLi7ELi9EEEENSS_IJLi8ELi10EEEENSS_IJLi11EEEENSS_IJLi12EEEENSS_IJLi14EEEENSS_IJLi13EEEEEEENS5_IJNSS_IJLi1ELi2ELi3EEEESX_SY_SZ_NSS_IJLi7EEEENSS_IJLi8ELi9EEEENSS_IJLi10EEEES12_S13_S15_S14_NSS_IJLi15ELi16EEEENSS_IJLi17EEEEEEENSS_IJLi15ELi17ELi16EEEElEENSB_INS5_IJSQ_SO_SO_SQ_SG_EEENS5_IJST_SU_SV_SX_SW_EEENS5_IJNSS_IJLi1ELi2EEEESW_SX_NSS_IJLi5ELi6EEEES18_EEENSS_IJLi5ELi7ELi6EEEElEENSB_INS5_IJSK_SO_SO_EEENS5_IJST_SU_SV_EEENS5_IJS1I_SW_SX_EEENSS_IJLi3ELi4EEEElEELi128ELi128ELi16ELi4ELi4ELi4ELi1ENSS_IJLi8ELi2EEEES1S_NSS_IJLi8ELi1ELi1ELi4EEEENSS_IJLi2ELi1ELi128ELi1EEEENSS_IJLi1ELi2ELi0ELi3EEEES1V_NSS_IJLi4ELi1ELi1ELi4EEEES1V_NSS_IJLi1ELi1ELi1ELi4EEEES1T_S1U_S1V_S1V_S1W_S1V_S1X_NSS_IJLi0ELi1ELi2ELi3ELi4ELi5EEEELi5ELi4EEEaNS5_IJPKaEEEaS8_S8_S9_NSB_INS5_IJSE_SG_SI_SG_SG_SK_SG_SM_SM_SO_SO_SQ_SG_SG_NSP_INS5_IJiNS_17integral_constantIiLi128EEEEEELb0EEENSF_INS23_IiLi4EEEEEEEENS5_IJST_SU_SV_SW_SX_SY_SZ_S10_S11_S12_S13_S14_S15_NSS_IJLi15EEEES1C_NSS_IJLi16EEEEEEENS5_IJS17_SX_SY_SZ_S18_S19_S1A_S12_S13_S15_S14_S1B_S1C_NSS_IJLi18EEEENSS_IJLi19ELi20EEEENSS_IJLi21EEEEEEENSS_IJLi18ELi19ELi20ELi21EEEElEENSB_INS5_IJSQ_SO_SO_SQ_SG_SG_S26_S28_EEENS5_IJST_SU_SV_SX_SW_SY_S18_SZ_EEENS5_IJS1I_SW_SX_S1J_S18_NSS_IJLi8EEEENSS_IJLi9ELi10EEEES12_EEENSS_IJLi8ELi9ELi10ELi11EEEElEENS5_IJNSB_INS5_IJSK_SO_SO_NSP_INS5_IJiNS23_IiLi2EEENS23_IiLi64EEEEEELb0EEES2T_EEENS5_IJST_SU_SV_SW_SX_EEENS5_IJS1I_SW_SX_NSS_IJLi5ELi6ELi7EEEENSS_IJLi8ELi9ELi10EEEEEEENSS_IJLi5ELi6ELi7ELi8ELi9ELi10EEEElEEEEES30_NS_31BlockToCTileMap_M00_N00_M01_N01ILi128ELi128ES1R_Lb0EEENS1_30ComputePtrOffsetOfStridedBatchILi1ELi1ELi1EvEELb0ELb1EEEvPKT0_S38_T1_PT2_T3_T4_T5_iT6_T7_T8_T9_T10_T11_
                                        ; -- End function
	.section	.AMDGPU.csdata,"",@progbits
; Kernel info:
; codeLenInByte = 11144
; NumSgprs: 72
; NumVgprs: 74
; NumAgprs: 0
; TotalNumVgprs: 74
; ScratchSize: 480
; MemoryBound: 0
; FloatMode: 240
; IeeeMode: 1
; LDSByteSize: 32768 bytes/workgroup (compile time only)
; SGPRBlocks: 8
; VGPRBlocks: 9
; NumSGPRsForWavesPerEU: 72
; NumVGPRsForWavesPerEU: 74
; AccumOffset: 76
; Occupancy: 2
; WaveLimiterHint : 1
; COMPUTE_PGM_RSRC2:SCRATCH_EN: 1
; COMPUTE_PGM_RSRC2:USER_SGPR: 8
; COMPUTE_PGM_RSRC2:TRAP_HANDLER: 0
; COMPUTE_PGM_RSRC2:TGID_X_EN: 1
; COMPUTE_PGM_RSRC2:TGID_Y_EN: 0
; COMPUTE_PGM_RSRC2:TGID_Z_EN: 0
; COMPUTE_PGM_RSRC2:TIDIG_COMP_CNT: 0
; COMPUTE_PGM_RSRC3_GFX90A:ACCUM_OFFSET: 18
; COMPUTE_PGM_RSRC3_GFX90A:TG_SPLIT: 0
	.section	.text._ZN2ck16tensor_operation6device12_GLOBAL__N_137kernel_grouped_conv_fwd_dl_multiple_dINS_32GridwiseGemmDlMultipleD_km_kn_mnILi256EaiNS_5TupleIJaEEEaNS0_12element_wise11PassThroughES8_NS7_7AddReluELNS_25InMemoryDataOperationEnumE0ENS_16TensorDescriptorINS5_IJNS_5EmbedINS5_IJiiiEEESD_Lb0EEENS_11PassThroughIiEENS_3PadIiiiLb0EEESG_SG_NSC_INS5_IJiiEEESJ_Lb0EEESG_NS_23Merge_v2_magic_divisionISJ_EESM_NS_8RightPadIiiLb0EEESO_NS_7UnMergeISJ_Lb0EEESG_EEENS5_IJNS_8SequenceIJLi0EEEENSS_IJLi1EEEENSS_IJLi2EEEENSS_IJLi3EEEENSS_IJLi4EEEENSS_IJLi5EEEENSS_IJLi6EEEENSS_IJLi7ELi9EEEENSS_IJLi8ELi10EEEENSS_IJLi11EEEENSS_IJLi12EEEENSS_IJLi14EEEENSS_IJLi13EEEEEEENS5_IJNSS_IJLi1ELi2ELi3EEEESX_SY_SZ_NSS_IJLi7EEEENSS_IJLi8ELi9EEEENSS_IJLi10EEEES12_S13_S15_S14_NSS_IJLi15ELi16EEEENSS_IJLi17EEEEEEENSS_IJLi15ELi17ELi16EEEElEENSB_INS5_IJSQ_SO_SO_SQ_SG_EEENS5_IJST_SU_SV_SX_SW_EEENS5_IJNSS_IJLi1ELi2EEEESW_SX_NSS_IJLi5ELi6EEEES18_EEENSS_IJLi5ELi7ELi6EEEElEENSB_INS5_IJSK_SO_SO_EEENS5_IJST_SU_SV_EEENS5_IJS1I_SW_SX_EEENSS_IJLi3ELi4EEEElEELi128ELi128ELi16ELi4ELi4ELi4ELi1ENSS_IJLi8ELi2EEEES1S_NSS_IJLi8ELi1ELi1ELi4EEEENSS_IJLi2ELi1ELi128ELi1EEEENSS_IJLi1ELi2ELi0ELi3EEEES1V_NSS_IJLi4ELi1ELi1ELi4EEEES1V_NSS_IJLi1ELi1ELi1ELi4EEEES1T_S1U_S1V_S1V_S1W_S1V_S1X_NSS_IJLi0ELi1ELi2ELi3ELi4ELi5EEEELi5ELi4EEEaNS5_IJPKaEEEaS8_S8_S9_NSB_INS5_IJSE_SG_SI_SG_SG_SK_SG_SM_SM_SO_SO_SQ_SG_SG_NSP_INS5_IJiNS_17integral_constantIiLi128EEEEEELb0EEENSF_INS23_IiLi4EEEEEEEENS5_IJST_SU_SV_SW_SX_SY_SZ_S10_S11_S12_S13_S14_S15_NSS_IJLi15EEEES1C_NSS_IJLi16EEEEEEENS5_IJS17_SX_SY_SZ_S18_S19_S1A_S12_S13_S15_S14_S1B_S1C_NSS_IJLi18EEEENSS_IJLi19ELi20EEEENSS_IJLi21EEEEEEENSS_IJLi18ELi19ELi20ELi21EEEElEENSB_INS5_IJSQ_SO_SO_SQ_SG_SG_S26_S28_EEENS5_IJST_SU_SV_SX_SW_SY_S18_SZ_EEENS5_IJS1I_SW_SX_S1J_S18_NSS_IJLi8EEEENSS_IJLi9ELi10EEEES12_EEENSS_IJLi8ELi9ELi10ELi11EEEElEENS5_IJNSB_INS5_IJSK_SO_SO_NSP_INS5_IJiNS23_IiLi2EEENS23_IiLi64EEEEEELb0EEES2T_EEENS5_IJST_SU_SV_SW_SX_EEENS5_IJS1I_SW_SX_NSS_IJLi5ELi6ELi7EEEENSS_IJLi8ELi9ELi10EEEEEEENSS_IJLi5ELi6ELi7ELi8ELi9ELi10EEEElEEEEES30_NS_31BlockToCTileMap_M00_N00_M01_N01ILi128ELi128ES1R_Lb0EEENS1_30ComputePtrOffsetOfStridedBatchILi1ELi1ELi1EvEELb0ELb0EEEvPKT0_S38_T1_PT2_T3_T4_T5_iT6_T7_T8_T9_T10_T11_,"axG",@progbits,_ZN2ck16tensor_operation6device12_GLOBAL__N_137kernel_grouped_conv_fwd_dl_multiple_dINS_32GridwiseGemmDlMultipleD_km_kn_mnILi256EaiNS_5TupleIJaEEEaNS0_12element_wise11PassThroughES8_NS7_7AddReluELNS_25InMemoryDataOperationEnumE0ENS_16TensorDescriptorINS5_IJNS_5EmbedINS5_IJiiiEEESD_Lb0EEENS_11PassThroughIiEENS_3PadIiiiLb0EEESG_SG_NSC_INS5_IJiiEEESJ_Lb0EEESG_NS_23Merge_v2_magic_divisionISJ_EESM_NS_8RightPadIiiLb0EEESO_NS_7UnMergeISJ_Lb0EEESG_EEENS5_IJNS_8SequenceIJLi0EEEENSS_IJLi1EEEENSS_IJLi2EEEENSS_IJLi3EEEENSS_IJLi4EEEENSS_IJLi5EEEENSS_IJLi6EEEENSS_IJLi7ELi9EEEENSS_IJLi8ELi10EEEENSS_IJLi11EEEENSS_IJLi12EEEENSS_IJLi14EEEENSS_IJLi13EEEEEEENS5_IJNSS_IJLi1ELi2ELi3EEEESX_SY_SZ_NSS_IJLi7EEEENSS_IJLi8ELi9EEEENSS_IJLi10EEEES12_S13_S15_S14_NSS_IJLi15ELi16EEEENSS_IJLi17EEEEEEENSS_IJLi15ELi17ELi16EEEElEENSB_INS5_IJSQ_SO_SO_SQ_SG_EEENS5_IJST_SU_SV_SX_SW_EEENS5_IJNSS_IJLi1ELi2EEEESW_SX_NSS_IJLi5ELi6EEEES18_EEENSS_IJLi5ELi7ELi6EEEElEENSB_INS5_IJSK_SO_SO_EEENS5_IJST_SU_SV_EEENS5_IJS1I_SW_SX_EEENSS_IJLi3ELi4EEEElEELi128ELi128ELi16ELi4ELi4ELi4ELi1ENSS_IJLi8ELi2EEEES1S_NSS_IJLi8ELi1ELi1ELi4EEEENSS_IJLi2ELi1ELi128ELi1EEEENSS_IJLi1ELi2ELi0ELi3EEEES1V_NSS_IJLi4ELi1ELi1ELi4EEEES1V_NSS_IJLi1ELi1ELi1ELi4EEEES1T_S1U_S1V_S1V_S1W_S1V_S1X_NSS_IJLi0ELi1ELi2ELi3ELi4ELi5EEEELi5ELi4EEEaNS5_IJPKaEEEaS8_S8_S9_NSB_INS5_IJSE_SG_SI_SG_SG_SK_SG_SM_SM_SO_SO_SQ_SG_SG_NSP_INS5_IJiNS_17integral_constantIiLi128EEEEEELb0EEENSF_INS23_IiLi4EEEEEEEENS5_IJST_SU_SV_SW_SX_SY_SZ_S10_S11_S12_S13_S14_S15_NSS_IJLi15EEEES1C_NSS_IJLi16EEEEEEENS5_IJS17_SX_SY_SZ_S18_S19_S1A_S12_S13_S15_S14_S1B_S1C_NSS_IJLi18EEEENSS_IJLi19ELi20EEEENSS_IJLi21EEEEEEENSS_IJLi18ELi19ELi20ELi21EEEElEENSB_INS5_IJSQ_SO_SO_SQ_SG_SG_S26_S28_EEENS5_IJST_SU_SV_SX_SW_SY_S18_SZ_EEENS5_IJS1I_SW_SX_S1J_S18_NSS_IJLi8EEEENSS_IJLi9ELi10EEEES12_EEENSS_IJLi8ELi9ELi10ELi11EEEElEENS5_IJNSB_INS5_IJSK_SO_SO_NSP_INS5_IJiNS23_IiLi2EEENS23_IiLi64EEEEEELb0EEES2T_EEENS5_IJST_SU_SV_SW_SX_EEENS5_IJS1I_SW_SX_NSS_IJLi5ELi6ELi7EEEENSS_IJLi8ELi9ELi10EEEEEEENSS_IJLi5ELi6ELi7ELi8ELi9ELi10EEEElEEEEES30_NS_31BlockToCTileMap_M00_N00_M01_N01ILi128ELi128ES1R_Lb0EEENS1_30ComputePtrOffsetOfStridedBatchILi1ELi1ELi1EvEELb0ELb0EEEvPKT0_S38_T1_PT2_T3_T4_T5_iT6_T7_T8_T9_T10_T11_,comdat
	.globl	_ZN2ck16tensor_operation6device12_GLOBAL__N_137kernel_grouped_conv_fwd_dl_multiple_dINS_32GridwiseGemmDlMultipleD_km_kn_mnILi256EaiNS_5TupleIJaEEEaNS0_12element_wise11PassThroughES8_NS7_7AddReluELNS_25InMemoryDataOperationEnumE0ENS_16TensorDescriptorINS5_IJNS_5EmbedINS5_IJiiiEEESD_Lb0EEENS_11PassThroughIiEENS_3PadIiiiLb0EEESG_SG_NSC_INS5_IJiiEEESJ_Lb0EEESG_NS_23Merge_v2_magic_divisionISJ_EESM_NS_8RightPadIiiLb0EEESO_NS_7UnMergeISJ_Lb0EEESG_EEENS5_IJNS_8SequenceIJLi0EEEENSS_IJLi1EEEENSS_IJLi2EEEENSS_IJLi3EEEENSS_IJLi4EEEENSS_IJLi5EEEENSS_IJLi6EEEENSS_IJLi7ELi9EEEENSS_IJLi8ELi10EEEENSS_IJLi11EEEENSS_IJLi12EEEENSS_IJLi14EEEENSS_IJLi13EEEEEEENS5_IJNSS_IJLi1ELi2ELi3EEEESX_SY_SZ_NSS_IJLi7EEEENSS_IJLi8ELi9EEEENSS_IJLi10EEEES12_S13_S15_S14_NSS_IJLi15ELi16EEEENSS_IJLi17EEEEEEENSS_IJLi15ELi17ELi16EEEElEENSB_INS5_IJSQ_SO_SO_SQ_SG_EEENS5_IJST_SU_SV_SX_SW_EEENS5_IJNSS_IJLi1ELi2EEEESW_SX_NSS_IJLi5ELi6EEEES18_EEENSS_IJLi5ELi7ELi6EEEElEENSB_INS5_IJSK_SO_SO_EEENS5_IJST_SU_SV_EEENS5_IJS1I_SW_SX_EEENSS_IJLi3ELi4EEEElEELi128ELi128ELi16ELi4ELi4ELi4ELi1ENSS_IJLi8ELi2EEEES1S_NSS_IJLi8ELi1ELi1ELi4EEEENSS_IJLi2ELi1ELi128ELi1EEEENSS_IJLi1ELi2ELi0ELi3EEEES1V_NSS_IJLi4ELi1ELi1ELi4EEEES1V_NSS_IJLi1ELi1ELi1ELi4EEEES1T_S1U_S1V_S1V_S1W_S1V_S1X_NSS_IJLi0ELi1ELi2ELi3ELi4ELi5EEEELi5ELi4EEEaNS5_IJPKaEEEaS8_S8_S9_NSB_INS5_IJSE_SG_SI_SG_SG_SK_SG_SM_SM_SO_SO_SQ_SG_SG_NSP_INS5_IJiNS_17integral_constantIiLi128EEEEEELb0EEENSF_INS23_IiLi4EEEEEEEENS5_IJST_SU_SV_SW_SX_SY_SZ_S10_S11_S12_S13_S14_S15_NSS_IJLi15EEEES1C_NSS_IJLi16EEEEEEENS5_IJS17_SX_SY_SZ_S18_S19_S1A_S12_S13_S15_S14_S1B_S1C_NSS_IJLi18EEEENSS_IJLi19ELi20EEEENSS_IJLi21EEEEEEENSS_IJLi18ELi19ELi20ELi21EEEElEENSB_INS5_IJSQ_SO_SO_SQ_SG_SG_S26_S28_EEENS5_IJST_SU_SV_SX_SW_SY_S18_SZ_EEENS5_IJS1I_SW_SX_S1J_S18_NSS_IJLi8EEEENSS_IJLi9ELi10EEEES12_EEENSS_IJLi8ELi9ELi10ELi11EEEElEENS5_IJNSB_INS5_IJSK_SO_SO_NSP_INS5_IJiNS23_IiLi2EEENS23_IiLi64EEEEEELb0EEES2T_EEENS5_IJST_SU_SV_SW_SX_EEENS5_IJS1I_SW_SX_NSS_IJLi5ELi6ELi7EEEENSS_IJLi8ELi9ELi10EEEEEEENSS_IJLi5ELi6ELi7ELi8ELi9ELi10EEEElEEEEES30_NS_31BlockToCTileMap_M00_N00_M01_N01ILi128ELi128ES1R_Lb0EEENS1_30ComputePtrOffsetOfStridedBatchILi1ELi1ELi1EvEELb0ELb0EEEvPKT0_S38_T1_PT2_T3_T4_T5_iT6_T7_T8_T9_T10_T11_ ; -- Begin function _ZN2ck16tensor_operation6device12_GLOBAL__N_137kernel_grouped_conv_fwd_dl_multiple_dINS_32GridwiseGemmDlMultipleD_km_kn_mnILi256EaiNS_5TupleIJaEEEaNS0_12element_wise11PassThroughES8_NS7_7AddReluELNS_25InMemoryDataOperationEnumE0ENS_16TensorDescriptorINS5_IJNS_5EmbedINS5_IJiiiEEESD_Lb0EEENS_11PassThroughIiEENS_3PadIiiiLb0EEESG_SG_NSC_INS5_IJiiEEESJ_Lb0EEESG_NS_23Merge_v2_magic_divisionISJ_EESM_NS_8RightPadIiiLb0EEESO_NS_7UnMergeISJ_Lb0EEESG_EEENS5_IJNS_8SequenceIJLi0EEEENSS_IJLi1EEEENSS_IJLi2EEEENSS_IJLi3EEEENSS_IJLi4EEEENSS_IJLi5EEEENSS_IJLi6EEEENSS_IJLi7ELi9EEEENSS_IJLi8ELi10EEEENSS_IJLi11EEEENSS_IJLi12EEEENSS_IJLi14EEEENSS_IJLi13EEEEEEENS5_IJNSS_IJLi1ELi2ELi3EEEESX_SY_SZ_NSS_IJLi7EEEENSS_IJLi8ELi9EEEENSS_IJLi10EEEES12_S13_S15_S14_NSS_IJLi15ELi16EEEENSS_IJLi17EEEEEEENSS_IJLi15ELi17ELi16EEEElEENSB_INS5_IJSQ_SO_SO_SQ_SG_EEENS5_IJST_SU_SV_SX_SW_EEENS5_IJNSS_IJLi1ELi2EEEESW_SX_NSS_IJLi5ELi6EEEES18_EEENSS_IJLi5ELi7ELi6EEEElEENSB_INS5_IJSK_SO_SO_EEENS5_IJST_SU_SV_EEENS5_IJS1I_SW_SX_EEENSS_IJLi3ELi4EEEElEELi128ELi128ELi16ELi4ELi4ELi4ELi1ENSS_IJLi8ELi2EEEES1S_NSS_IJLi8ELi1ELi1ELi4EEEENSS_IJLi2ELi1ELi128ELi1EEEENSS_IJLi1ELi2ELi0ELi3EEEES1V_NSS_IJLi4ELi1ELi1ELi4EEEES1V_NSS_IJLi1ELi1ELi1ELi4EEEES1T_S1U_S1V_S1V_S1W_S1V_S1X_NSS_IJLi0ELi1ELi2ELi3ELi4ELi5EEEELi5ELi4EEEaNS5_IJPKaEEEaS8_S8_S9_NSB_INS5_IJSE_SG_SI_SG_SG_SK_SG_SM_SM_SO_SO_SQ_SG_SG_NSP_INS5_IJiNS_17integral_constantIiLi128EEEEEELb0EEENSF_INS23_IiLi4EEEEEEEENS5_IJST_SU_SV_SW_SX_SY_SZ_S10_S11_S12_S13_S14_S15_NSS_IJLi15EEEES1C_NSS_IJLi16EEEEEEENS5_IJS17_SX_SY_SZ_S18_S19_S1A_S12_S13_S15_S14_S1B_S1C_NSS_IJLi18EEEENSS_IJLi19ELi20EEEENSS_IJLi21EEEEEEENSS_IJLi18ELi19ELi20ELi21EEEElEENSB_INS5_IJSQ_SO_SO_SQ_SG_SG_S26_S28_EEENS5_IJST_SU_SV_SX_SW_SY_S18_SZ_EEENS5_IJS1I_SW_SX_S1J_S18_NSS_IJLi8EEEENSS_IJLi9ELi10EEEES12_EEENSS_IJLi8ELi9ELi10ELi11EEEElEENS5_IJNSB_INS5_IJSK_SO_SO_NSP_INS5_IJiNS23_IiLi2EEENS23_IiLi64EEEEEELb0EEES2T_EEENS5_IJST_SU_SV_SW_SX_EEENS5_IJS1I_SW_SX_NSS_IJLi5ELi6ELi7EEEENSS_IJLi8ELi9ELi10EEEEEEENSS_IJLi5ELi6ELi7ELi8ELi9ELi10EEEElEEEEES30_NS_31BlockToCTileMap_M00_N00_M01_N01ILi128ELi128ES1R_Lb0EEENS1_30ComputePtrOffsetOfStridedBatchILi1ELi1ELi1EvEELb0ELb0EEEvPKT0_S38_T1_PT2_T3_T4_T5_iT6_T7_T8_T9_T10_T11_
	.p2align	8
	.type	_ZN2ck16tensor_operation6device12_GLOBAL__N_137kernel_grouped_conv_fwd_dl_multiple_dINS_32GridwiseGemmDlMultipleD_km_kn_mnILi256EaiNS_5TupleIJaEEEaNS0_12element_wise11PassThroughES8_NS7_7AddReluELNS_25InMemoryDataOperationEnumE0ENS_16TensorDescriptorINS5_IJNS_5EmbedINS5_IJiiiEEESD_Lb0EEENS_11PassThroughIiEENS_3PadIiiiLb0EEESG_SG_NSC_INS5_IJiiEEESJ_Lb0EEESG_NS_23Merge_v2_magic_divisionISJ_EESM_NS_8RightPadIiiLb0EEESO_NS_7UnMergeISJ_Lb0EEESG_EEENS5_IJNS_8SequenceIJLi0EEEENSS_IJLi1EEEENSS_IJLi2EEEENSS_IJLi3EEEENSS_IJLi4EEEENSS_IJLi5EEEENSS_IJLi6EEEENSS_IJLi7ELi9EEEENSS_IJLi8ELi10EEEENSS_IJLi11EEEENSS_IJLi12EEEENSS_IJLi14EEEENSS_IJLi13EEEEEEENS5_IJNSS_IJLi1ELi2ELi3EEEESX_SY_SZ_NSS_IJLi7EEEENSS_IJLi8ELi9EEEENSS_IJLi10EEEES12_S13_S15_S14_NSS_IJLi15ELi16EEEENSS_IJLi17EEEEEEENSS_IJLi15ELi17ELi16EEEElEENSB_INS5_IJSQ_SO_SO_SQ_SG_EEENS5_IJST_SU_SV_SX_SW_EEENS5_IJNSS_IJLi1ELi2EEEESW_SX_NSS_IJLi5ELi6EEEES18_EEENSS_IJLi5ELi7ELi6EEEElEENSB_INS5_IJSK_SO_SO_EEENS5_IJST_SU_SV_EEENS5_IJS1I_SW_SX_EEENSS_IJLi3ELi4EEEElEELi128ELi128ELi16ELi4ELi4ELi4ELi1ENSS_IJLi8ELi2EEEES1S_NSS_IJLi8ELi1ELi1ELi4EEEENSS_IJLi2ELi1ELi128ELi1EEEENSS_IJLi1ELi2ELi0ELi3EEEES1V_NSS_IJLi4ELi1ELi1ELi4EEEES1V_NSS_IJLi1ELi1ELi1ELi4EEEES1T_S1U_S1V_S1V_S1W_S1V_S1X_NSS_IJLi0ELi1ELi2ELi3ELi4ELi5EEEELi5ELi4EEEaNS5_IJPKaEEEaS8_S8_S9_NSB_INS5_IJSE_SG_SI_SG_SG_SK_SG_SM_SM_SO_SO_SQ_SG_SG_NSP_INS5_IJiNS_17integral_constantIiLi128EEEEEELb0EEENSF_INS23_IiLi4EEEEEEEENS5_IJST_SU_SV_SW_SX_SY_SZ_S10_S11_S12_S13_S14_S15_NSS_IJLi15EEEES1C_NSS_IJLi16EEEEEEENS5_IJS17_SX_SY_SZ_S18_S19_S1A_S12_S13_S15_S14_S1B_S1C_NSS_IJLi18EEEENSS_IJLi19ELi20EEEENSS_IJLi21EEEEEEENSS_IJLi18ELi19ELi20ELi21EEEElEENSB_INS5_IJSQ_SO_SO_SQ_SG_SG_S26_S28_EEENS5_IJST_SU_SV_SX_SW_SY_S18_SZ_EEENS5_IJS1I_SW_SX_S1J_S18_NSS_IJLi8EEEENSS_IJLi9ELi10EEEES12_EEENSS_IJLi8ELi9ELi10ELi11EEEElEENS5_IJNSB_INS5_IJSK_SO_SO_NSP_INS5_IJiNS23_IiLi2EEENS23_IiLi64EEEEEELb0EEES2T_EEENS5_IJST_SU_SV_SW_SX_EEENS5_IJS1I_SW_SX_NSS_IJLi5ELi6ELi7EEEENSS_IJLi8ELi9ELi10EEEEEEENSS_IJLi5ELi6ELi7ELi8ELi9ELi10EEEElEEEEES30_NS_31BlockToCTileMap_M00_N00_M01_N01ILi128ELi128ES1R_Lb0EEENS1_30ComputePtrOffsetOfStridedBatchILi1ELi1ELi1EvEELb0ELb0EEEvPKT0_S38_T1_PT2_T3_T4_T5_iT6_T7_T8_T9_T10_T11_,@function
_ZN2ck16tensor_operation6device12_GLOBAL__N_137kernel_grouped_conv_fwd_dl_multiple_dINS_32GridwiseGemmDlMultipleD_km_kn_mnILi256EaiNS_5TupleIJaEEEaNS0_12element_wise11PassThroughES8_NS7_7AddReluELNS_25InMemoryDataOperationEnumE0ENS_16TensorDescriptorINS5_IJNS_5EmbedINS5_IJiiiEEESD_Lb0EEENS_11PassThroughIiEENS_3PadIiiiLb0EEESG_SG_NSC_INS5_IJiiEEESJ_Lb0EEESG_NS_23Merge_v2_magic_divisionISJ_EESM_NS_8RightPadIiiLb0EEESO_NS_7UnMergeISJ_Lb0EEESG_EEENS5_IJNS_8SequenceIJLi0EEEENSS_IJLi1EEEENSS_IJLi2EEEENSS_IJLi3EEEENSS_IJLi4EEEENSS_IJLi5EEEENSS_IJLi6EEEENSS_IJLi7ELi9EEEENSS_IJLi8ELi10EEEENSS_IJLi11EEEENSS_IJLi12EEEENSS_IJLi14EEEENSS_IJLi13EEEEEEENS5_IJNSS_IJLi1ELi2ELi3EEEESX_SY_SZ_NSS_IJLi7EEEENSS_IJLi8ELi9EEEENSS_IJLi10EEEES12_S13_S15_S14_NSS_IJLi15ELi16EEEENSS_IJLi17EEEEEEENSS_IJLi15ELi17ELi16EEEElEENSB_INS5_IJSQ_SO_SO_SQ_SG_EEENS5_IJST_SU_SV_SX_SW_EEENS5_IJNSS_IJLi1ELi2EEEESW_SX_NSS_IJLi5ELi6EEEES18_EEENSS_IJLi5ELi7ELi6EEEElEENSB_INS5_IJSK_SO_SO_EEENS5_IJST_SU_SV_EEENS5_IJS1I_SW_SX_EEENSS_IJLi3ELi4EEEElEELi128ELi128ELi16ELi4ELi4ELi4ELi1ENSS_IJLi8ELi2EEEES1S_NSS_IJLi8ELi1ELi1ELi4EEEENSS_IJLi2ELi1ELi128ELi1EEEENSS_IJLi1ELi2ELi0ELi3EEEES1V_NSS_IJLi4ELi1ELi1ELi4EEEES1V_NSS_IJLi1ELi1ELi1ELi4EEEES1T_S1U_S1V_S1V_S1W_S1V_S1X_NSS_IJLi0ELi1ELi2ELi3ELi4ELi5EEEELi5ELi4EEEaNS5_IJPKaEEEaS8_S8_S9_NSB_INS5_IJSE_SG_SI_SG_SG_SK_SG_SM_SM_SO_SO_SQ_SG_SG_NSP_INS5_IJiNS_17integral_constantIiLi128EEEEEELb0EEENSF_INS23_IiLi4EEEEEEEENS5_IJST_SU_SV_SW_SX_SY_SZ_S10_S11_S12_S13_S14_S15_NSS_IJLi15EEEES1C_NSS_IJLi16EEEEEEENS5_IJS17_SX_SY_SZ_S18_S19_S1A_S12_S13_S15_S14_S1B_S1C_NSS_IJLi18EEEENSS_IJLi19ELi20EEEENSS_IJLi21EEEEEEENSS_IJLi18ELi19ELi20ELi21EEEElEENSB_INS5_IJSQ_SO_SO_SQ_SG_SG_S26_S28_EEENS5_IJST_SU_SV_SX_SW_SY_S18_SZ_EEENS5_IJS1I_SW_SX_S1J_S18_NSS_IJLi8EEEENSS_IJLi9ELi10EEEES12_EEENSS_IJLi8ELi9ELi10ELi11EEEElEENS5_IJNSB_INS5_IJSK_SO_SO_NSP_INS5_IJiNS23_IiLi2EEENS23_IiLi64EEEEEELb0EEES2T_EEENS5_IJST_SU_SV_SW_SX_EEENS5_IJS1I_SW_SX_NSS_IJLi5ELi6ELi7EEEENSS_IJLi8ELi9ELi10EEEEEEENSS_IJLi5ELi6ELi7ELi8ELi9ELi10EEEElEEEEES30_NS_31BlockToCTileMap_M00_N00_M01_N01ILi128ELi128ES1R_Lb0EEENS1_30ComputePtrOffsetOfStridedBatchILi1ELi1ELi1EvEELb0ELb0EEEvPKT0_S38_T1_PT2_T3_T4_T5_iT6_T7_T8_T9_T10_T11_: ; @_ZN2ck16tensor_operation6device12_GLOBAL__N_137kernel_grouped_conv_fwd_dl_multiple_dINS_32GridwiseGemmDlMultipleD_km_kn_mnILi256EaiNS_5TupleIJaEEEaNS0_12element_wise11PassThroughES8_NS7_7AddReluELNS_25InMemoryDataOperationEnumE0ENS_16TensorDescriptorINS5_IJNS_5EmbedINS5_IJiiiEEESD_Lb0EEENS_11PassThroughIiEENS_3PadIiiiLb0EEESG_SG_NSC_INS5_IJiiEEESJ_Lb0EEESG_NS_23Merge_v2_magic_divisionISJ_EESM_NS_8RightPadIiiLb0EEESO_NS_7UnMergeISJ_Lb0EEESG_EEENS5_IJNS_8SequenceIJLi0EEEENSS_IJLi1EEEENSS_IJLi2EEEENSS_IJLi3EEEENSS_IJLi4EEEENSS_IJLi5EEEENSS_IJLi6EEEENSS_IJLi7ELi9EEEENSS_IJLi8ELi10EEEENSS_IJLi11EEEENSS_IJLi12EEEENSS_IJLi14EEEENSS_IJLi13EEEEEEENS5_IJNSS_IJLi1ELi2ELi3EEEESX_SY_SZ_NSS_IJLi7EEEENSS_IJLi8ELi9EEEENSS_IJLi10EEEES12_S13_S15_S14_NSS_IJLi15ELi16EEEENSS_IJLi17EEEEEEENSS_IJLi15ELi17ELi16EEEElEENSB_INS5_IJSQ_SO_SO_SQ_SG_EEENS5_IJST_SU_SV_SX_SW_EEENS5_IJNSS_IJLi1ELi2EEEESW_SX_NSS_IJLi5ELi6EEEES18_EEENSS_IJLi5ELi7ELi6EEEElEENSB_INS5_IJSK_SO_SO_EEENS5_IJST_SU_SV_EEENS5_IJS1I_SW_SX_EEENSS_IJLi3ELi4EEEElEELi128ELi128ELi16ELi4ELi4ELi4ELi1ENSS_IJLi8ELi2EEEES1S_NSS_IJLi8ELi1ELi1ELi4EEEENSS_IJLi2ELi1ELi128ELi1EEEENSS_IJLi1ELi2ELi0ELi3EEEES1V_NSS_IJLi4ELi1ELi1ELi4EEEES1V_NSS_IJLi1ELi1ELi1ELi4EEEES1T_S1U_S1V_S1V_S1W_S1V_S1X_NSS_IJLi0ELi1ELi2ELi3ELi4ELi5EEEELi5ELi4EEEaNS5_IJPKaEEEaS8_S8_S9_NSB_INS5_IJSE_SG_SI_SG_SG_SK_SG_SM_SM_SO_SO_SQ_SG_SG_NSP_INS5_IJiNS_17integral_constantIiLi128EEEEEELb0EEENSF_INS23_IiLi4EEEEEEEENS5_IJST_SU_SV_SW_SX_SY_SZ_S10_S11_S12_S13_S14_S15_NSS_IJLi15EEEES1C_NSS_IJLi16EEEEEEENS5_IJS17_SX_SY_SZ_S18_S19_S1A_S12_S13_S15_S14_S1B_S1C_NSS_IJLi18EEEENSS_IJLi19ELi20EEEENSS_IJLi21EEEEEEENSS_IJLi18ELi19ELi20ELi21EEEElEENSB_INS5_IJSQ_SO_SO_SQ_SG_SG_S26_S28_EEENS5_IJST_SU_SV_SX_SW_SY_S18_SZ_EEENS5_IJS1I_SW_SX_S1J_S18_NSS_IJLi8EEEENSS_IJLi9ELi10EEEES12_EEENSS_IJLi8ELi9ELi10ELi11EEEElEENS5_IJNSB_INS5_IJSK_SO_SO_NSP_INS5_IJiNS23_IiLi2EEENS23_IiLi64EEEEEELb0EEES2T_EEENS5_IJST_SU_SV_SW_SX_EEENS5_IJS1I_SW_SX_NSS_IJLi5ELi6ELi7EEEENSS_IJLi8ELi9ELi10EEEEEEENSS_IJLi5ELi6ELi7ELi8ELi9ELi10EEEElEEEEES30_NS_31BlockToCTileMap_M00_N00_M01_N01ILi128ELi128ES1R_Lb0EEENS1_30ComputePtrOffsetOfStridedBatchILi1ELi1ELi1EvEELb0ELb0EEEvPKT0_S38_T1_PT2_T3_T4_T5_iT6_T7_T8_T9_T10_T11_
; %bb.0:
	s_add_u32 flat_scratch_lo, s6, s9
	s_addc_u32 flat_scratch_hi, s7, 0
	s_add_u32 s0, s0, s9
	s_addc_u32 s1, s1, 0
	s_load_dwordx8 s[20:27], s[4:5], 0x0
	s_load_dword s28, s[4:5], 0x24
	s_load_dwordx8 s[12:19], s[4:5], 0x34
	s_load_dwordx2 s[6:7], s[4:5], 0x60
	s_load_dword s47, s[4:5], 0x70
	s_load_dword s61, s[4:5], 0x78
	s_load_dword s62, s[4:5], 0x80
	s_load_dword s10, s[4:5], 0x8c
	s_load_dword s31, s[4:5], 0x94
	s_waitcnt lgkmcnt(0)
	s_abs_i32 s29, s28
	v_cvt_f32_u32_e32 v1, s29
	s_load_dword s19, s[4:5], 0x9c
	s_load_dword s9, s[4:5], 0xa8
	;; [unrolled: 1-line block ×3, first 2 shown]
	s_sub_i32 s36, 0, s29
	s_load_dword s60, s[4:5], 0xc4
	s_load_dword s46, s[4:5], 0xe8
	s_load_dword s35, s[4:5], 0xf8
	s_load_dword s34, s[4:5], 0x104
	s_load_dword s33, s[4:5], 0x110
	s_load_dword s11, s[4:5], 0x120
	s_load_dword s30, s[4:5], 0x148
	v_rcp_iflag_f32_e32 v1, v1
	s_load_dword s63, s[4:5], 0x204
	s_load_dword s64, s[4:5], 0x214
	s_waitcnt lgkmcnt(0)
	s_xor_b32 s28, s15, s28
	s_abs_i32 s15, s15
	v_mul_f32_e32 v1, 0x4f7ffffe, v1
	v_cvt_u32_f32_e32 v1, v1
	s_ashr_i32 s28, s28, 31
	s_load_dwordx4 s[48:51], s[4:5], 0x220
	s_load_dwordx4 s[56:59], s[4:5], 0x234
	;; [unrolled: 1-line block ×3, first 2 shown]
	v_lshrrev_b32_e32 v19, 1, v0
	v_readfirstlane_b32 s37, v1
	s_mul_i32 s36, s36, s37
	s_mul_hi_u32 s36, s37, s36
	s_add_i32 s37, s37, s36
	s_mul_hi_u32 s36, s15, s37
	s_mul_i32 s37, s36, s29
	s_sub_i32 s15, s15, s37
	s_add_i32 s37, s36, 1
	s_sub_i32 s38, s15, s29
	s_cmp_ge_u32 s15, s29
	s_cselect_b32 s36, s37, s36
	s_cselect_b32 s15, s38, s15
	s_add_i32 s37, s36, 1
	s_cmp_ge_u32 s15, s29
	s_cselect_b32 s15, s37, s36
	s_xor_b32 s15, s15, s28
	s_sub_i32 s15, s15, s28
	s_abs_i32 s28, s15
	v_cvt_f32_u32_e32 v1, s28
	s_sub_i32 s44, 0, s28
	s_abs_i32 s29, s8
	s_xor_b32 s15, s8, s15
	v_rcp_iflag_f32_e32 v1, v1
	s_ashr_i32 s15, s15, 31
	s_load_dwordx8 s[36:43], s[4:5], 0x260
	v_mov_b32_e32 v34, 0
	v_mul_f32_e32 v1, 0x4f7ffffe, v1
	v_cvt_u32_f32_e32 v1, v1
	s_movk_i32 s32, 0x7000
	v_readfirstlane_b32 s45, v1
	s_mul_i32 s44, s44, s45
	s_mul_hi_u32 s44, s45, s44
	s_add_i32 s45, s45, s44
	s_mul_hi_u32 s44, s29, s45
	s_mul_i32 s45, s44, s28
	s_sub_i32 s29, s29, s45
	s_add_i32 s45, s44, 1
	s_sub_i32 s65, s29, s28
	s_cmp_ge_u32 s29, s28
	s_cselect_b32 s44, s45, s44
	s_cselect_b32 s29, s65, s29
	s_add_i32 s45, s44, 1
	s_cmp_ge_u32 s29, s28
	s_cselect_b32 s28, s45, s44
	s_xor_b32 s28, s28, s15
	s_sub_i32 s15, s28, s15
	s_ashr_i32 s28, s15, 31
	s_waitcnt lgkmcnt(0)
	s_mul_i32 s29, s36, s28
	s_mul_hi_u32 s44, s36, s15
	s_add_i32 s29, s44, s29
	s_mul_i32 s37, s37, s15
	s_add_i32 s29, s29, s37
	s_mul_i32 s37, s38, s28
	s_mul_hi_u32 s44, s38, s15
	s_add_i32 s37, s44, s37
	s_mul_i32 s39, s39, s15
	s_add_i32 s37, s37, s39
	;; [unrolled: 5-line block ×3, first 2 shown]
	s_mul_i32 s28, s40, s28
	s_mul_hi_u32 s43, s40, s15
	s_add_i32 s28, s43, s28
	s_mul_i32 s41, s41, s15
	s_mul_i32 s36, s36, s15
	;; [unrolled: 1-line block ×4, first 2 shown]
	s_add_i32 s28, s28, s41
	s_mul_i32 s15, s40, s15
	s_add_u32 s24, s24, s15
	s_addc_u32 s25, s25, s28
	s_add_u32 s44, s20, s36
	s_addc_u32 s45, s21, s29
	;; [unrolled: 2-line block ×3, first 2 shown]
	s_add_u32 s20, s26, s42
	s_mul_hi_u32 s15, s59, s8
	s_addc_u32 s21, s27, s39
	s_add_i32 s15, s8, s15
	s_lshr_b32 s15, s15, s55
	s_mul_i32 s22, s15, s51
	s_sub_i32 s8, s8, s22
	s_mul_hi_u32 s22, s15, s58
	s_add_i32 s22, s15, s22
	s_lshr_b32 s22, s22, s54
	s_mul_i32 s23, s22, s50
	s_sub_i32 s15, s15, s23
	s_mul_hi_u32 s23, s22, s57
	;; [unrolled: 5-line block ×3, first 2 shown]
	s_add_i32 s26, s23, s26
	s_lshr_b32 s26, s26, s52
	v_lshlrev_b32_e32 v1, 3, v0
	s_mul_i32 s26, s26, s48
	v_and_b32_e32 v20, 8, v1
	s_sub_i32 s23, s23, s26
	v_mul_lo_u32 v22, s60, v20
	s_mul_i32 s23, s23, s63
	v_mul_hi_u32 v1, v22, s31
	s_add_i32 s15, s15, s23
	v_add_u32_e32 v1, v22, v1
	s_lshl_b32 s15, s15, 7
	v_lshrrev_b32_e32 v6, s19, v1
	v_or_b32_e32 v21, s15, v19
	v_mul_lo_u32 v1, v6, s10
	v_sub_u32_e32 v4, v22, v1
	v_mul_hi_u32 v1, v21, s61
	v_add_u32_e32 v1, v21, v1
	v_lshrrev_b32_e32 v1, s62, v1
	v_mul_lo_u32 v2, v1, s47
	s_mul_i32 s22, s22, s64
	v_sub_u32_e32 v3, v21, v2
	v_mul_lo_u32 v2, v6, s6
	s_add_i32 s8, s8, s22
	v_mad_u64_u32 v[16:17], s[22:23], v3, s7, v[2:3]
	v_subrev_u32_e32 v2, s17, v16
	v_mul_lo_u32 v1, v1, s12
	v_mul_lo_u32 v2, v2, s13
	;; [unrolled: 1-line block ×3, first 2 shown]
	v_add3_u32 v7, v1, v3, v2
	v_lshrrev_b32_e32 v1, 5, v0
	v_lshlrev_b32_e32 v3, 1, v0
	v_lshlrev_b32_e32 v2, 6, v1
	v_and_b32_e32 v5, 0x1f8, v3
	v_sub_u32_e32 v2, v5, v2
	v_lshlrev_b32_e32 v0, 2, v0
	v_and_or_b32 v35, v0, 4, v2
	v_and_b32_e32 v0, 0x1fc, v3
	v_sub_u32_e32 v0, v0, v5
	v_lshl_add_u32 v36, v1, 3, v0
	v_lshlrev_b32_e32 v0, 2, v36
	buffer_store_dword v34, off, s[0:3], 0 offset:64
	buffer_store_dword v36, off, s[0:3], 0 offset:68
	;; [unrolled: 1-line block ×12, first 2 shown]
	v_lshlrev_b32_e32 v0, 2, v35
	s_mov_b64 s[22:23], src_shared_base
	buffer_store_dword v0, off, s[0:3], 0 offset:112
	buffer_store_dword v34, off, s[0:3], 0 offset:116
	;; [unrolled: 1-line block ×72, first 2 shown]
	v_mov_b32_e32 v0, s23
	buffer_store_dword v0, off, s[0:3], 0 offset:404
	buffer_store_dword v34, off, s[0:3], 0 offset:400
	buffer_store_byte v34, off, s[0:3], 0 offset:409
	buffer_store_dword v0, off, s[0:3], 0 offset:420
	v_mov_b32_e32 v0, 0x4000
	buffer_store_dword v0, off, s[0:3], 0 offset:416
	buffer_store_byte v34, off, s[0:3], 0 offset:425
	v_or_b32_e32 v0, 4, v20
	v_mul_lo_u32 v17, s60, v0
	v_mul_hi_u32 v5, v17, s31
	v_add_u32_e32 v5, v17, v5
	v_lshrrev_b32_e32 v8, s19, v5
	v_mad_u64_u32 v[4:5], s[22:23], v8, s10, v[4:5]
	s_mov_b32 s47, 0x20000
	v_sub_u32_e32 v5, v8, v6
	buffer_load_dwordx4 v[0:3], v7, s[44:47], 0 offen
	v_sub_u32_e32 v4, v17, v4
	v_mul_lo_u32 v23, v5, s6
	v_mul_lo_u32 v5, v23, s13
	;; [unrolled: 1-line block ×3, first 2 shown]
	v_add3_u32 v4, v4, v5, v7
	s_lshl_b32 s19, s8, 7
	buffer_load_dwordx4 v[4:7], v4, s[44:47], 0 offen
	v_or_b32_e32 v24, s19, v19
	v_mul_lo_u32 v18, s11, v20
	v_mad_u64_u32 v[12:13], s[6:7], v24, s35, v[18:19]
	s_mov_b32 s31, s47
	buffer_load_dwordx4 v[8:11], v12, s[28:31], 0 offen
	s_lshl_b32 s12, s11, 2
	v_add_u32_e32 v12, s12, v12
	buffer_load_dwordx4 v[12:15], v12, s[28:31], 0 offen
	s_load_dword s13, s[4:5], 0xb4
	s_sub_i32 s14, s16, s18
	v_cmp_gt_i32_e64 s[6:7], s9, v21
	v_cmp_le_i32_e64 s[8:9], s17, v16
	v_cmp_gt_i32_e64 s[10:11], s14, v16
	s_waitcnt lgkmcnt(0)
	v_cmp_gt_i32_e32 vcc, s13, v22
	s_and_b64 s[8:9], s[8:9], s[10:11]
	s_and_b64 s[8:9], vcc, s[8:9]
	v_add_u32_e32 v16, v16, v23
	s_and_b64 vcc, s[6:7], s[8:9]
	v_cmp_le_i32_e64 s[8:9], s17, v16
	v_cmp_gt_i32_e64 s[10:11], s14, v16
	s_and_b64 s[8:9], s[8:9], s[10:11]
	v_add_u32_e32 v16, s12, v18
	v_lshlrev_b32_e32 v19, 2, v19
	v_lshl_or_b32 v19, v20, 9, v19
	s_waitcnt vmcnt(3)
	v_cndmask_b32_e32 v3, 0, v3, vcc
	v_cndmask_b32_e32 v2, 0, v2, vcc
	v_cndmask_b32_e32 v1, 0, v1, vcc
	v_cndmask_b32_e32 v0, 0, v0, vcc
	v_cmp_gt_i32_e32 vcc, s13, v17
	s_and_b64 s[8:9], vcc, s[8:9]
	s_and_b64 vcc, s[6:7], s[8:9]
	s_waitcnt vmcnt(2)
	v_cndmask_b32_e32 v7, 0, v7, vcc
	v_cndmask_b32_e32 v6, 0, v6, vcc
	;; [unrolled: 1-line block ×4, first 2 shown]
	v_cmp_gt_i32_e32 vcc, s33, v18
	v_cmp_gt_i32_e64 s[6:7], s34, v24
	s_and_b64 vcc, vcc, s[6:7]
	s_waitcnt vmcnt(1)
	v_cndmask_b32_e32 v11, 0, v11, vcc
	v_cndmask_b32_e32 v10, 0, v10, vcc
	;; [unrolled: 1-line block ×4, first 2 shown]
	v_cmp_gt_i32_e32 vcc, s33, v16
	s_and_b64 vcc, vcc, s[6:7]
	s_mov_b32 s6, 0x3020104
	v_perm_b32 v0, v0, v0, s6
	ds_write2st64_b32 v19, v0, v1 offset1:2
	v_perm_b32 v0, v2, v2, s6
	ds_write2st64_b32 v19, v0, v3 offset0:4 offset1:6
	v_perm_b32 v0, v4, v4, s6
	ds_write2st64_b32 v19, v0, v5 offset0:8 offset1:10
	v_perm_b32 v0, v6, v6, s6
	ds_write2st64_b32 v19, v0, v7 offset0:12 offset1:14
	v_perm_b32 v0, v8, v8, s6
	s_waitcnt vmcnt(0)
	v_cndmask_b32_e32 v12, 0, v12, vcc
	ds_write2st64_b32 v19, v0, v9 offset0:64 offset1:66
	v_perm_b32 v0, v10, v10, s6
	v_cndmask_b32_e32 v14, 0, v14, vcc
	v_cndmask_b32_e32 v13, 0, v13, vcc
	ds_write2st64_b32 v19, v0, v11 offset0:68 offset1:70
	v_perm_b32 v0, v12, v12, s6
	v_cndmask_b32_e32 v15, 0, v15, vcc
	ds_write2st64_b32 v19, v0, v13 offset0:72 offset1:74
	v_perm_b32 v0, v14, v14, s6
	ds_write2st64_b32 v19, v0, v15 offset0:76 offset1:78
	s_waitcnt lgkmcnt(0)
	s_barrier
	buffer_load_dword v0, off, s[0:3], 0 offset:80
	buffer_load_dword v1, off, s[0:3], 0 offset:400
	buffer_load_dword v2, off, s[0:3], 0 offset:404
	s_nop 0
	buffer_store_dword v34, off, s[0:3], 0
	buffer_store_dword v34, off, s[0:3], 0 offset:4
	buffer_store_dword v34, off, s[0:3], 0 offset:8
	;; [unrolled: 1-line block ×15, first 2 shown]
	buffer_load_dword v16, off, s[0:3], 0 offset:180
	buffer_load_dword v17, off, s[0:3], 0 offset:184
	buffer_load_dword v18, off, s[0:3], 0 offset:160
	buffer_load_dword v19, off, s[0:3], 0 offset:164
	buffer_load_dword v20, off, s[0:3], 0 offset:168
	buffer_load_dword v21, off, s[0:3], 0 offset:172
	buffer_load_dword v4, off, s[0:3], 0 offset:416
	buffer_load_dword v5, off, s[0:3], 0 offset:420
	buffer_load_dword v22, off, s[0:3], 0 offset:148
	buffer_load_dword v23, off, s[0:3], 0 offset:152
	buffer_load_dword v24, off, s[0:3], 0 offset:156
	buffer_load_dword v25, off, s[0:3], 0 offset:144
	buffer_load_dword v6, off, s[0:3], 0 offset:112
	s_mov_b64 s[6:7], src_private_base
	s_waitcnt vmcnt(31)
	v_ashrrev_i32_e32 v3, 31, v0
	s_waitcnt vmcnt(30)
	v_add_co_u32_e32 v12, vcc, v1, v0
	s_waitcnt vmcnt(29)
	v_addc_co_u32_e32 v13, vcc, v2, v3, vcc
	flat_load_dwordx4 v[0:3], v[12:13]
	s_waitcnt vmcnt(0)
	v_ashrrev_i32_e32 v7, 31, v6
	v_add_co_u32_e32 v8, vcc, v4, v6
	s_waitcnt lgkmcnt(0)
	buffer_store_dword v0, off, s[0:3], 0
	buffer_store_dword v1, off, s[0:3], 0 offset:4
	buffer_store_dword v2, off, s[0:3], 0 offset:8
	;; [unrolled: 1-line block ×3, first 2 shown]
	v_addc_co_u32_e32 v9, vcc, v5, v7, vcc
	buffer_load_dword v26, off, s[0:3], 0 offset:212
	buffer_load_dword v27, off, s[0:3], 0 offset:192
	;; [unrolled: 1-line block ×6, first 2 shown]
	flat_load_dwordx4 v[4:7], v[8:9]
	s_waitcnt vmcnt(0) lgkmcnt(0)
	buffer_store_dword v4, off, s[0:3], 0 offset:32
	buffer_store_dword v5, off, s[0:3], 0 offset:36
	;; [unrolled: 1-line block ×4, first 2 shown]
	flat_load_dwordx4 v[8:11], v[8:9] offset:256
	s_nop 0
	buffer_load_dword v32, off, s[0:3], 0 offset:176
	buffer_load_dword v33, off, s[0:3], 0 offset:208
	;; [unrolled: 1-line block ×16, first 2 shown]
	s_waitcnt vmcnt(0) lgkmcnt(0)
	buffer_store_dword v8, off, s[0:3], 0 offset:48
	buffer_store_dword v9, off, s[0:3], 0 offset:52
	;; [unrolled: 1-line block ×4, first 2 shown]
	flat_load_dwordx4 v[12:15], v[12:13] offset:256
	s_load_dwordx2 s[10:11], s[4:5], 0x1a8
	s_load_dword s14, s[4:5], 0x1b4
	s_load_dword s16, s[4:5], 0x1c0
	;; [unrolled: 1-line block ×3, first 2 shown]
	s_load_dwordx2 s[12:13], s[4:5], 0x158
	s_load_dword s17, s[4:5], 0x164
	s_load_dword s8, s[4:5], 0x170
	;; [unrolled: 1-line block ×3, first 2 shown]
	v_dot4c_i32_i8_e32 v25, v0, v4
	v_dot4c_i32_i8_e32 v22, v0, v5
	;; [unrolled: 1-line block ×32, first 2 shown]
	v_mov_b32_e32 v0, 64
	v_mov_b32_e32 v2, 0x190
	;; [unrolled: 1-line block ×12, first 2 shown]
	s_getpc_b64 s[4:5]
	s_add_u32 s4, s4, _ZNK2ck6detail15static_for_implINS_8SequenceIJLi1ELi2ELi3ELi4ELi5ELi6ELi7ELi8ELi9ELi10ELi11ELi12ELi13ELi14ELi15EEEEEclIZNKS_80BlockwiseGemmDl_A_BK0_BM_BK1_B_BK0_BN_BK1_C_BM0_BM1_BN0_BN1_pipeline_BM0_2_BN0_2ILi256EaaiKNS_16TensorDescriptorINS_5TupleIJNS_5EmbedINS8_IJNS_17integral_constantIiLi16EEENSA_IiLi128EEENSA_IiLi4EEEEEENS8_IJNSA_IiLi512EEESD_NSA_IiLi1EEEEEELb0EEEEEENS8_IJNS2_IJLi0EEEEEEENS8_IJNS2_IJLi1ELi2ELi3EEEEEEESM_NSA_IlLl8192EEEEESQ_Li4ELi4ELi1ENS2_IJLi8ELi2EEEESR_Li4ELi4ELb0EE3RunINS7_INS8_IJNS_7UnMergeINS8_IJNSA_IiLi2EEESD_SV_SD_EEELb0EEEEEESL_NS8_IJNS2_IJLi1ELi2ELi3ELi4EEEEEEESZ_NSA_IlLl64EEEEENS_13DynamicBufferILNS_16AddressSpaceEnumE2EaSO_Lb1ELNS_22AmdBufferCoherenceEnumE0EiEES16_NS_12StaticBufferILS14_4EiLi64ELb1EEEEEvRKT_RKT0_RKT1_RT2_EUlS19_E_EEvS19_@rel32@lo+4
	s_addc_u32 s5, s5, _ZNK2ck6detail15static_for_implINS_8SequenceIJLi1ELi2ELi3ELi4ELi5ELi6ELi7ELi8ELi9ELi10ELi11ELi12ELi13ELi14ELi15EEEEEclIZNKS_80BlockwiseGemmDl_A_BK0_BM_BK1_B_BK0_BN_BK1_C_BM0_BM1_BN0_BN1_pipeline_BM0_2_BN0_2ILi256EaaiKNS_16TensorDescriptorINS_5TupleIJNS_5EmbedINS8_IJNS_17integral_constantIiLi16EEENSA_IiLi128EEENSA_IiLi4EEEEEENS8_IJNSA_IiLi512EEESD_NSA_IiLi1EEEEEELb0EEEEEENS8_IJNS2_IJLi0EEEEEEENS8_IJNS2_IJLi1ELi2ELi3EEEEEEESM_NSA_IlLl8192EEEEESQ_Li4ELi4ELi1ENS2_IJLi8ELi2EEEESR_Li4ELi4ELb0EE3RunINS7_INS8_IJNS_7UnMergeINS8_IJNSA_IiLi2EEESD_SV_SD_EEELb0EEEEEESL_NS8_IJNS2_IJLi1ELi2ELi3ELi4EEEEEEESZ_NSA_IlLl64EEEEENS_13DynamicBufferILNS_16AddressSpaceEnumE2EaSO_Lb1ELNS_22AmdBufferCoherenceEnumE0EiEES16_NS_12StaticBufferILS14_4EiLi64ELb1EEEEEvRKT_RKT0_RKT1_RT2_EUlS19_E_EEvS19_@rel32@hi+12
	buffer_store_dword v25, off, s[0:3], 0 offset:144
	buffer_store_dword v22, off, s[0:3], 0 offset:148
	buffer_store_dword v23, off, s[0:3], 0 offset:152
	buffer_store_dword v24, off, s[0:3], 0 offset:156
	buffer_store_dword v32, off, s[0:3], 0 offset:176
	buffer_store_dword v16, off, s[0:3], 0 offset:180
	buffer_store_dword v17, off, s[0:3], 0 offset:184
	buffer_store_dword v31, off, s[0:3], 0 offset:188
	buffer_store_dword v33, off, s[0:3], 0 offset:208
	buffer_store_dword v26, off, s[0:3], 0 offset:212
	buffer_store_dword v37, off, s[0:3], 0 offset:216
	buffer_store_dword v38, off, s[0:3], 0 offset:220
	buffer_store_dword v39, off, s[0:3], 0 offset:240
	buffer_store_dword v40, off, s[0:3], 0 offset:244
	buffer_store_dword v41, off, s[0:3], 0 offset:248
	buffer_store_dword v42, off, s[0:3], 0 offset:252
	buffer_store_dword v18, off, s[0:3], 0 offset:160
	buffer_store_dword v19, off, s[0:3], 0 offset:164
	buffer_store_dword v20, off, s[0:3], 0 offset:168
	buffer_store_dword v21, off, s[0:3], 0 offset:172
	buffer_store_dword v27, off, s[0:3], 0 offset:192
	buffer_store_dword v28, off, s[0:3], 0 offset:196
	buffer_store_dword v29, off, s[0:3], 0 offset:200
	buffer_store_dword v30, off, s[0:3], 0 offset:204
	buffer_store_dword v43, off, s[0:3], 0 offset:224
	buffer_store_dword v44, off, s[0:3], 0 offset:228
	buffer_store_dword v45, off, s[0:3], 0 offset:232
	buffer_store_dword v46, off, s[0:3], 0 offset:236
	buffer_store_dword v47, off, s[0:3], 0 offset:256
	buffer_store_dword v48, off, s[0:3], 0 offset:260
	buffer_store_dword v49, off, s[0:3], 0 offset:264
	buffer_store_dword v50, off, s[0:3], 0 offset:268
	s_waitcnt vmcnt(0) lgkmcnt(0)
	buffer_store_dword v12, off, s[0:3], 0 offset:16
	buffer_store_dword v13, off, s[0:3], 0 offset:20
	;; [unrolled: 1-line block ×4, first 2 shown]
	s_swappc_b64 s[30:31], s[4:5]
	buffer_load_dword v19, off, s[0:3], 0 offset:32
	buffer_load_dword v33, off, s[0:3], 0 offset:36
	;; [unrolled: 1-line block ×57, first 2 shown]
	s_mov_b32 s27, s47
	s_lshl_b32 s9, s13, 7
	s_mov_b32 s23, s47
	s_waitcnt vmcnt(50)
	v_dot4c_i32_i8_e32 v25, v39, v19
	s_waitcnt vmcnt(49)
	v_dot4c_i32_i8_e32 v24, v39, v33
	;; [unrolled: 2-line block ×12, first 2 shown]
	buffer_store_dword v25, off, s[0:3], 0 offset:272
	buffer_store_dword v24, off, s[0:3], 0 offset:276
	;; [unrolled: 1-line block ×12, first 2 shown]
	s_waitcnt vmcnt(48)
	v_dot4c_i32_i8_e32 v0, v42, v19
	s_waitcnt vmcnt(47)
	v_dot4c_i32_i8_e32 v1, v42, v33
	v_add_u32_e32 v33, s19, v35
	v_add_u32_e32 v35, s15, v36
	s_waitcnt vmcnt(46)
	v_dot4c_i32_i8_e32 v2, v42, v37
	s_waitcnt vmcnt(45)
	v_dot4c_i32_i8_e32 v3, v42, v38
	;; [unrolled: 2-line block ×4, first 2 shown]
	v_mul_lo_u32 v36, v35, s12
	s_waitcnt vmcnt(39)
	v_dot4c_i32_i8_e32 v31, v39, v45
	buffer_store_dword v0, off, s[0:3], 0 offset:368
	s_waitcnt vmcnt(38)
	v_dot4c_i32_i8_e32 v32, v39, v46
	s_waitcnt vmcnt(37)
	v_dot4c_i32_i8_e32 v21, v40, v43
	;; [unrolled: 2-line block ×13, first 2 shown]
	buffer_store_dword v1, off, s[0:3], 0 offset:372
	buffer_store_dword v2, off, s[0:3], 0 offset:376
	;; [unrolled: 1-line block ×19, first 2 shown]
	v_mad_u64_u32 v[36:37], s[4:5], v33, s13, v[36:37]
	buffer_load_dword v19, v36, s[24:27], 0 offen
	v_cmp_gt_i32_e64 s[4:5], s8, v33
	v_cmp_gt_i32_e64 s[6:7], s17, v35
	s_and_b64 vcc, s[6:7], s[4:5]
	s_lshl_b32 s15, s13, 6
	v_add_u32_e32 v36, s15, v36
	v_add_u32_e32 v41, 64, v33
	s_add_i32 s13, s15, s12
	s_sub_i32 s13, s13, s9
	s_waitcnt vmcnt(0)
	v_cndmask_b32_e32 v19, 0, v19, vcc
	v_add_u16_sdwa v37, v19, v47 dst_sel:DWORD dst_unused:UNUSED_PAD src0_sel:BYTE_3 src1_sel:DWORD
	v_add_u16_sdwa v38, v19, v48 dst_sel:DWORD dst_unused:UNUSED_PAD src0_sel:WORD_1 src1_sel:DWORD
	v_add_u16_sdwa v39, v19, v49 dst_sel:DWORD dst_unused:UNUSED_PAD src0_sel:BYTE_1 src1_sel:DWORD
	v_add_u16_e32 v19, v19, v50
	v_max_i16_sdwa v40, sext(v19), v34 dst_sel:DWORD dst_unused:UNUSED_PAD src0_sel:BYTE_0 src1_sel:DWORD
	v_max_i16_sdwa v39, sext(v39), v34 dst_sel:DWORD dst_unused:UNUSED_PAD src0_sel:BYTE_0 src1_sel:DWORD
	;; [unrolled: 1-line block ×4, first 2 shown]
	buffer_store_dword v40, off, s[0:3], 0 offset:144
	buffer_store_dword v37, off, s[0:3], 0 offset:156
	;; [unrolled: 1-line block ×4, first 2 shown]
	buffer_load_dword v19, v36, s[24:27], 0 offen
	v_cmp_gt_i32_e32 vcc, s8, v41
	s_and_b64 s[6:7], s[6:7], vcc
	v_add_u32_e32 v36, s13, v36
	s_waitcnt vmcnt(0)
	v_cndmask_b32_e64 v19, 0, v19, s[6:7]
	v_add_u16_e32 v42, v19, v52
	v_add_u16_sdwa v43, v19, v53 dst_sel:DWORD dst_unused:UNUSED_PAD src0_sel:BYTE_3 src1_sel:DWORD
	v_add_u16_sdwa v44, v19, v58 dst_sel:DWORD dst_unused:UNUSED_PAD src0_sel:WORD_1 src1_sel:DWORD
	v_add_u16_sdwa v19, v19, v51 dst_sel:DWORD dst_unused:UNUSED_PAD src0_sel:BYTE_1 src1_sel:DWORD
	v_max_i16_sdwa v42, sext(v42), v34 dst_sel:DWORD dst_unused:UNUSED_PAD src0_sel:BYTE_0 src1_sel:DWORD
	v_max_i16_sdwa v19, sext(v19), v34 dst_sel:DWORD dst_unused:UNUSED_PAD src0_sel:BYTE_0 src1_sel:DWORD
	;; [unrolled: 1-line block ×4, first 2 shown]
	buffer_store_dword v42, off, s[0:3], 0 offset:160
	buffer_store_dword v43, off, s[0:3], 0 offset:172
	;; [unrolled: 1-line block ×4, first 2 shown]
	buffer_load_dword v19, v36, s[24:27], 0 offen
	v_or_b32_e32 v42, 1, v35
	v_cmp_gt_i32_e64 s[6:7], s17, v42
	s_and_b64 s[8:9], s[6:7], s[4:5]
	v_add_u32_e32 v36, s15, v36
	s_and_b64 s[6:7], s[6:7], vcc
	s_waitcnt vmcnt(0)
	v_cndmask_b32_e64 v19, 0, v19, s[8:9]
	v_add_u16_e32 v43, v19, v54
	v_add_u16_sdwa v44, v19, v57 dst_sel:DWORD dst_unused:UNUSED_PAD src0_sel:BYTE_3 src1_sel:DWORD
	v_add_u16_sdwa v45, v19, v56 dst_sel:DWORD dst_unused:UNUSED_PAD src0_sel:WORD_1 src1_sel:DWORD
	v_add_u16_sdwa v19, v19, v55 dst_sel:DWORD dst_unused:UNUSED_PAD src0_sel:BYTE_1 src1_sel:DWORD
	v_max_i16_sdwa v43, sext(v43), v34 dst_sel:DWORD dst_unused:UNUSED_PAD src0_sel:BYTE_0 src1_sel:DWORD
	v_max_i16_sdwa v19, sext(v19), v34 dst_sel:DWORD dst_unused:UNUSED_PAD src0_sel:BYTE_0 src1_sel:DWORD
	;; [unrolled: 1-line block ×4, first 2 shown]
	buffer_store_dword v43, off, s[0:3], 0 offset:176
	buffer_store_dword v44, off, s[0:3], 0 offset:188
	;; [unrolled: 1-line block ×4, first 2 shown]
	buffer_load_dword v19, v36, s[24:27], 0 offen
	s_nop 0
	buffer_load_dword v43, off, s[0:3], 0 offset:192
	buffer_load_dword v44, off, s[0:3], 0 offset:204
	;; [unrolled: 1-line block ×8, first 2 shown]
	v_add_u32_e32 v36, s13, v36
	s_waitcnt vmcnt(8)
	v_cndmask_b32_e64 v19, 0, v19, s[6:7]
	s_waitcnt vmcnt(7)
	v_add_u16_e32 v43, v19, v43
	s_waitcnt vmcnt(6)
	v_add_u16_sdwa v44, v19, v44 dst_sel:DWORD dst_unused:UNUSED_PAD src0_sel:BYTE_3 src1_sel:DWORD
	s_waitcnt vmcnt(5)
	v_add_u16_sdwa v45, v19, v45 dst_sel:DWORD dst_unused:UNUSED_PAD src0_sel:WORD_1 src1_sel:DWORD
	s_waitcnt vmcnt(4)
	v_add_u16_sdwa v19, v19, v46 dst_sel:DWORD dst_unused:UNUSED_PAD src0_sel:BYTE_1 src1_sel:DWORD
	v_max_i16_sdwa v43, sext(v43), v34 dst_sel:DWORD dst_unused:UNUSED_PAD src0_sel:BYTE_0 src1_sel:DWORD
	v_max_i16_sdwa v19, sext(v19), v34 dst_sel:DWORD dst_unused:UNUSED_PAD src0_sel:BYTE_0 src1_sel:DWORD
	;; [unrolled: 1-line block ×4, first 2 shown]
	buffer_store_dword v43, off, s[0:3], 0 offset:192
	buffer_store_dword v44, off, s[0:3], 0 offset:204
	;; [unrolled: 1-line block ×4, first 2 shown]
	buffer_load_dword v19, v36, s[24:27], 0 offen
	v_or_b32_e32 v43, 2, v35
	v_cmp_gt_i32_e64 s[6:7], s17, v43
	s_and_b64 s[8:9], s[6:7], s[4:5]
	v_add_u32_e32 v36, s15, v36
	s_and_b64 s[6:7], s[6:7], vcc
	s_waitcnt vmcnt(0)
	v_cndmask_b32_e64 v19, 0, v19, s[8:9]
	v_add_u16_e32 v44, v19, v47
	v_add_u16_sdwa v45, v19, v50 dst_sel:DWORD dst_unused:UNUSED_PAD src0_sel:BYTE_3 src1_sel:DWORD
	v_add_u16_sdwa v46, v19, v49 dst_sel:DWORD dst_unused:UNUSED_PAD src0_sel:WORD_1 src1_sel:DWORD
	v_add_u16_sdwa v19, v19, v48 dst_sel:DWORD dst_unused:UNUSED_PAD src0_sel:BYTE_1 src1_sel:DWORD
	v_max_i16_sdwa v44, sext(v44), v34 dst_sel:DWORD dst_unused:UNUSED_PAD src0_sel:BYTE_0 src1_sel:DWORD
	v_max_i16_sdwa v19, sext(v19), v34 dst_sel:DWORD dst_unused:UNUSED_PAD src0_sel:BYTE_0 src1_sel:DWORD
	;; [unrolled: 1-line block ×4, first 2 shown]
	buffer_store_dword v44, off, s[0:3], 0 offset:208
	buffer_store_dword v45, off, s[0:3], 0 offset:220
	;; [unrolled: 1-line block ×4, first 2 shown]
	buffer_load_dword v19, v36, s[24:27], 0 offen
	s_nop 0
	buffer_load_dword v44, off, s[0:3], 0 offset:224
	buffer_load_dword v45, off, s[0:3], 0 offset:236
	;; [unrolled: 1-line block ×8, first 2 shown]
	v_add_u32_e32 v36, s13, v36
	s_waitcnt vmcnt(8)
	v_cndmask_b32_e64 v19, 0, v19, s[6:7]
	s_waitcnt vmcnt(7)
	v_add_u16_e32 v44, v19, v44
	s_waitcnt vmcnt(6)
	v_add_u16_sdwa v45, v19, v45 dst_sel:DWORD dst_unused:UNUSED_PAD src0_sel:BYTE_3 src1_sel:DWORD
	s_waitcnt vmcnt(5)
	v_add_u16_sdwa v46, v19, v46 dst_sel:DWORD dst_unused:UNUSED_PAD src0_sel:WORD_1 src1_sel:DWORD
	s_waitcnt vmcnt(4)
	v_add_u16_sdwa v19, v19, v47 dst_sel:DWORD dst_unused:UNUSED_PAD src0_sel:BYTE_1 src1_sel:DWORD
	v_max_i16_sdwa v44, sext(v44), v34 dst_sel:DWORD dst_unused:UNUSED_PAD src0_sel:BYTE_0 src1_sel:DWORD
	v_max_i16_sdwa v19, sext(v19), v34 dst_sel:DWORD dst_unused:UNUSED_PAD src0_sel:BYTE_0 src1_sel:DWORD
	v_max_i16_sdwa v46, sext(v46), v34 dst_sel:DWORD dst_unused:UNUSED_PAD src0_sel:BYTE_0 src1_sel:DWORD
	v_max_i16_sdwa v45, sext(v45), v34 dst_sel:DWORD dst_unused:UNUSED_PAD src0_sel:BYTE_0 src1_sel:DWORD
	buffer_store_dword v44, off, s[0:3], 0 offset:224
	buffer_store_dword v45, off, s[0:3], 0 offset:236
	;; [unrolled: 1-line block ×4, first 2 shown]
	buffer_load_dword v19, v36, s[24:27], 0 offen
	v_or_b32_e32 v44, 3, v35
	v_cmp_gt_i32_e64 s[6:7], s17, v44
	s_and_b64 s[8:9], s[6:7], s[4:5]
	v_add_u32_e32 v36, s15, v36
	s_and_b64 s[6:7], s[6:7], vcc
	s_waitcnt vmcnt(0)
	v_cndmask_b32_e64 v19, 0, v19, s[8:9]
	v_add_u16_e32 v45, v19, v48
	v_add_u16_sdwa v46, v19, v51 dst_sel:DWORD dst_unused:UNUSED_PAD src0_sel:BYTE_3 src1_sel:DWORD
	v_add_u16_sdwa v47, v19, v50 dst_sel:DWORD dst_unused:UNUSED_PAD src0_sel:WORD_1 src1_sel:DWORD
	v_add_u16_sdwa v19, v19, v49 dst_sel:DWORD dst_unused:UNUSED_PAD src0_sel:BYTE_1 src1_sel:DWORD
	v_max_i16_sdwa v45, sext(v45), v34 dst_sel:DWORD dst_unused:UNUSED_PAD src0_sel:BYTE_0 src1_sel:DWORD
	v_max_i16_sdwa v19, sext(v19), v34 dst_sel:DWORD dst_unused:UNUSED_PAD src0_sel:BYTE_0 src1_sel:DWORD
	;; [unrolled: 1-line block ×4, first 2 shown]
	buffer_store_dword v45, off, s[0:3], 0 offset:240
	buffer_store_dword v46, off, s[0:3], 0 offset:252
	;; [unrolled: 1-line block ×4, first 2 shown]
	buffer_load_dword v19, v36, s[24:27], 0 offen
	s_nop 0
	buffer_load_dword v45, off, s[0:3], 0 offset:256
	buffer_load_dword v46, off, s[0:3], 0 offset:264
	;; [unrolled: 1-line block ×3, first 2 shown]
	s_mul_i32 s8, s12, 60
	s_add_i32 s8, s13, s8
	v_add_u32_e32 v36, s8, v36
	s_waitcnt vmcnt(3)
	v_cndmask_b32_e64 v19, 0, v19, s[6:7]
	s_waitcnt vmcnt(2)
	v_add_u16_e32 v45, v19, v45
	v_add_u16_sdwa v48, v19, v59 dst_sel:DWORD dst_unused:UNUSED_PAD src0_sel:BYTE_3 src1_sel:DWORD
	s_waitcnt vmcnt(1)
	v_add_u16_sdwa v46, v19, v46 dst_sel:DWORD dst_unused:UNUSED_PAD src0_sel:WORD_1 src1_sel:DWORD
	s_waitcnt vmcnt(0)
	v_add_u16_sdwa v19, v19, v47 dst_sel:DWORD dst_unused:UNUSED_PAD src0_sel:BYTE_1 src1_sel:DWORD
	v_max_i16_sdwa v45, sext(v45), v34 dst_sel:DWORD dst_unused:UNUSED_PAD src0_sel:BYTE_0 src1_sel:DWORD
	v_max_i16_sdwa v19, sext(v19), v34 dst_sel:DWORD dst_unused:UNUSED_PAD src0_sel:BYTE_0 src1_sel:DWORD
	;; [unrolled: 1-line block ×4, first 2 shown]
	buffer_store_dword v45, off, s[0:3], 0 offset:256
	buffer_store_dword v47, off, s[0:3], 0 offset:268
	;; [unrolled: 1-line block ×4, first 2 shown]
	buffer_load_dword v45, v36, s[24:27], 0 offen
	v_add_u32_e32 v19, 64, v35
	v_cmp_gt_i32_e64 s[6:7], s17, v19
	s_and_b64 s[8:9], s[6:7], s[4:5]
	v_add_u32_e32 v36, s15, v36
	s_and_b64 s[6:7], s[6:7], vcc
	s_waitcnt vmcnt(0)
	v_cndmask_b32_e64 v45, 0, v45, s[8:9]
	v_add_u16_e32 v25, v45, v25
	v_add_u16_sdwa v27, v45, v27 dst_sel:DWORD dst_unused:UNUSED_PAD src0_sel:BYTE_3 src1_sel:DWORD
	v_add_u16_sdwa v26, v45, v26 dst_sel:DWORD dst_unused:UNUSED_PAD src0_sel:WORD_1 src1_sel:DWORD
	v_add_u16_sdwa v24, v45, v24 dst_sel:DWORD dst_unused:UNUSED_PAD src0_sel:BYTE_1 src1_sel:DWORD
	v_max_i16_sdwa v25, sext(v25), v34 dst_sel:DWORD dst_unused:UNUSED_PAD src0_sel:BYTE_0 src1_sel:DWORD
	v_max_i16_sdwa v24, sext(v24), v34 dst_sel:DWORD dst_unused:UNUSED_PAD src0_sel:BYTE_0 src1_sel:DWORD
	;; [unrolled: 1-line block ×4, first 2 shown]
	buffer_store_dword v25, off, s[0:3], 0 offset:272
	buffer_store_dword v27, off, s[0:3], 0 offset:284
	;; [unrolled: 1-line block ×4, first 2 shown]
	buffer_load_dword v24, v36, s[24:27], 0 offen
	v_add_u32_e32 v25, s13, v36
	s_waitcnt vmcnt(0)
	v_cndmask_b32_e64 v24, 0, v24, s[6:7]
	v_add_u16_e32 v26, v24, v29
	v_add_u16_sdwa v27, v24, v32 dst_sel:DWORD dst_unused:UNUSED_PAD src0_sel:BYTE_3 src1_sel:DWORD
	v_add_u16_sdwa v29, v24, v31 dst_sel:DWORD dst_unused:UNUSED_PAD src0_sel:WORD_1 src1_sel:DWORD
	v_add_u16_sdwa v24, v24, v30 dst_sel:DWORD dst_unused:UNUSED_PAD src0_sel:BYTE_1 src1_sel:DWORD
	v_max_i16_sdwa v26, sext(v26), v34 dst_sel:DWORD dst_unused:UNUSED_PAD src0_sel:BYTE_0 src1_sel:DWORD
	v_max_i16_sdwa v24, sext(v24), v34 dst_sel:DWORD dst_unused:UNUSED_PAD src0_sel:BYTE_0 src1_sel:DWORD
	;; [unrolled: 1-line block ×4, first 2 shown]
	buffer_store_dword v26, off, s[0:3], 0 offset:288
	buffer_store_dword v27, off, s[0:3], 0 offset:300
	buffer_store_dword v29, off, s[0:3], 0 offset:296
	buffer_store_dword v24, off, s[0:3], 0 offset:292
	buffer_load_dword v26, v25, s[24:27], 0 offen
	v_add_u32_e32 v24, 0x41, v35
	v_cmp_gt_i32_e64 s[6:7], s17, v24
	s_and_b64 s[8:9], s[6:7], s[4:5]
	v_add_u32_e32 v25, s15, v25
	s_and_b64 s[6:7], s[6:7], vcc
	s_waitcnt vmcnt(0)
	v_cndmask_b32_e64 v26, 0, v26, s[8:9]
	v_add_u16_e32 v13, v26, v13
	v_add_u16_sdwa v20, v26, v20 dst_sel:DWORD dst_unused:UNUSED_PAD src0_sel:BYTE_3 src1_sel:DWORD
	v_add_u16_sdwa v18, v26, v18 dst_sel:DWORD dst_unused:UNUSED_PAD src0_sel:WORD_1 src1_sel:DWORD
	v_add_u16_sdwa v12, v26, v12 dst_sel:DWORD dst_unused:UNUSED_PAD src0_sel:BYTE_1 src1_sel:DWORD
	v_max_i16_sdwa v13, sext(v13), v34 dst_sel:DWORD dst_unused:UNUSED_PAD src0_sel:BYTE_0 src1_sel:DWORD
	v_max_i16_sdwa v12, sext(v12), v34 dst_sel:DWORD dst_unused:UNUSED_PAD src0_sel:BYTE_0 src1_sel:DWORD
	;; [unrolled: 1-line block ×4, first 2 shown]
	buffer_store_dword v13, off, s[0:3], 0 offset:304
	buffer_store_dword v20, off, s[0:3], 0 offset:316
	;; [unrolled: 1-line block ×4, first 2 shown]
	buffer_load_dword v12, v25, s[24:27], 0 offen
	v_add_u32_e32 v13, s13, v25
	s_waitcnt vmcnt(0)
	v_cndmask_b32_e64 v12, 0, v12, s[6:7]
	v_add_u16_e32 v18, v12, v21
	v_add_u16_sdwa v20, v12, v28 dst_sel:DWORD dst_unused:UNUSED_PAD src0_sel:BYTE_3 src1_sel:DWORD
	v_add_u16_sdwa v21, v12, v23 dst_sel:DWORD dst_unused:UNUSED_PAD src0_sel:WORD_1 src1_sel:DWORD
	v_add_u16_sdwa v12, v12, v22 dst_sel:DWORD dst_unused:UNUSED_PAD src0_sel:BYTE_1 src1_sel:DWORD
	v_max_i16_sdwa v18, sext(v18), v34 dst_sel:DWORD dst_unused:UNUSED_PAD src0_sel:BYTE_0 src1_sel:DWORD
	v_max_i16_sdwa v12, sext(v12), v34 dst_sel:DWORD dst_unused:UNUSED_PAD src0_sel:BYTE_0 src1_sel:DWORD
	;; [unrolled: 1-line block ×4, first 2 shown]
	buffer_store_dword v18, off, s[0:3], 0 offset:320
	buffer_store_dword v20, off, s[0:3], 0 offset:332
	;; [unrolled: 1-line block ×4, first 2 shown]
	buffer_load_dword v12, v13, s[24:27], 0 offen
	v_add_u32_e32 v18, 0x42, v35
	v_cmp_gt_i32_e64 s[6:7], s17, v18
	s_and_b64 s[8:9], s[6:7], s[4:5]
	v_add_u32_e32 v13, s15, v13
	s_and_b64 s[6:7], s[6:7], vcc
	s_waitcnt vmcnt(0)
	v_cndmask_b32_e64 v12, 0, v12, s[8:9]
	v_add_u16_e32 v8, v12, v8
	v_add_u16_sdwa v11, v12, v11 dst_sel:DWORD dst_unused:UNUSED_PAD src0_sel:BYTE_3 src1_sel:DWORD
	v_add_u16_sdwa v10, v12, v10 dst_sel:DWORD dst_unused:UNUSED_PAD src0_sel:WORD_1 src1_sel:DWORD
	v_add_u16_sdwa v9, v12, v9 dst_sel:DWORD dst_unused:UNUSED_PAD src0_sel:BYTE_1 src1_sel:DWORD
	v_max_i16_sdwa v8, sext(v8), v34 dst_sel:DWORD dst_unused:UNUSED_PAD src0_sel:BYTE_0 src1_sel:DWORD
	v_max_i16_sdwa v9, sext(v9), v34 dst_sel:DWORD dst_unused:UNUSED_PAD src0_sel:BYTE_0 src1_sel:DWORD
	;; [unrolled: 1-line block ×4, first 2 shown]
	buffer_store_dword v8, off, s[0:3], 0 offset:336
	buffer_store_dword v11, off, s[0:3], 0 offset:348
	;; [unrolled: 1-line block ×4, first 2 shown]
	buffer_load_dword v8, v13, s[24:27], 0 offen
	v_add_u32_e32 v9, s13, v13
	v_cmp_gt_i32_e64 s[8:9], s14, v35
	s_waitcnt vmcnt(0)
	v_cndmask_b32_e64 v8, 0, v8, s[6:7]
	v_add_u16_e32 v10, v8, v14
	v_add_u16_sdwa v11, v8, v17 dst_sel:DWORD dst_unused:UNUSED_PAD src0_sel:BYTE_3 src1_sel:DWORD
	v_add_u16_sdwa v12, v8, v16 dst_sel:DWORD dst_unused:UNUSED_PAD src0_sel:WORD_1 src1_sel:DWORD
	v_add_u16_sdwa v8, v8, v15 dst_sel:DWORD dst_unused:UNUSED_PAD src0_sel:BYTE_1 src1_sel:DWORD
	v_max_i16_sdwa v10, sext(v10), v34 dst_sel:DWORD dst_unused:UNUSED_PAD src0_sel:BYTE_0 src1_sel:DWORD
	v_max_i16_sdwa v8, sext(v8), v34 dst_sel:DWORD dst_unused:UNUSED_PAD src0_sel:BYTE_0 src1_sel:DWORD
	;; [unrolled: 1-line block ×4, first 2 shown]
	buffer_store_dword v10, off, s[0:3], 0 offset:352
	buffer_store_dword v11, off, s[0:3], 0 offset:364
	;; [unrolled: 1-line block ×4, first 2 shown]
	buffer_load_dword v8, v9, s[24:27], 0 offen
	v_add_u32_e32 v10, 0x43, v35
	v_cmp_gt_i32_e64 s[6:7], s17, v10
	s_and_b64 s[4:5], s[6:7], s[4:5]
	v_add_u32_e32 v9, s15, v9
	s_and_b64 vcc, s[6:7], vcc
	s_lshl_b32 s15, s10, 6
	s_waitcnt vmcnt(0)
	v_cndmask_b32_e64 v8, 0, v8, s[4:5]
	v_add_u16_e32 v0, v8, v0
	v_add_u16_sdwa v3, v8, v3 dst_sel:DWORD dst_unused:UNUSED_PAD src0_sel:BYTE_3 src1_sel:DWORD
	v_add_u16_sdwa v2, v8, v2 dst_sel:DWORD dst_unused:UNUSED_PAD src0_sel:WORD_1 src1_sel:DWORD
	v_add_u16_sdwa v1, v8, v1 dst_sel:DWORD dst_unused:UNUSED_PAD src0_sel:BYTE_1 src1_sel:DWORD
	v_max_i16_sdwa v0, sext(v0), v34 dst_sel:DWORD dst_unused:UNUSED_PAD src0_sel:BYTE_0 src1_sel:DWORD
	v_max_i16_sdwa v1, sext(v1), v34 dst_sel:DWORD dst_unused:UNUSED_PAD src0_sel:BYTE_0 src1_sel:DWORD
	v_max_i16_sdwa v2, sext(v2), v34 dst_sel:DWORD dst_unused:UNUSED_PAD src0_sel:BYTE_0 src1_sel:DWORD
	v_max_i16_sdwa v3, sext(v3), v34 dst_sel:DWORD dst_unused:UNUSED_PAD src0_sel:BYTE_0 src1_sel:DWORD
	buffer_store_dword v0, off, s[0:3], 0 offset:368
	buffer_store_dword v3, off, s[0:3], 0 offset:380
	;; [unrolled: 1-line block ×4, first 2 shown]
	buffer_load_dword v2, v9, s[24:27], 0 offen
	v_mul_lo_u32 v0, v35, s10
	v_cmp_gt_i32_e64 s[4:5], s16, v33
	v_mad_u64_u32 v[0:1], s[12:13], v33, s11, v[0:1]
	v_bfrev_b32_e32 v3, 1
	s_and_b64 s[12:13], s[8:9], s[4:5]
	v_lshlrev_b16_e32 v8, 8, v39
	v_lshlrev_b16_e32 v9, 8, v37
	v_cndmask_b32_e64 v1, v3, 0, s[12:13]
	v_or_b32_e32 v8, v40, v8
	v_or_b32_sdwa v9, v38, v9 dst_sel:WORD_1 dst_unused:UNUSED_PAD src0_sel:DWORD src1_sel:DWORD
	v_add_u32_e32 v1, v1, v0
	v_or_b32_sdwa v8, v8, v9 dst_sel:DWORD dst_unused:UNUSED_PAD src0_sel:WORD_0 src1_sel:DWORD
	s_lshl_b32 s13, s11, 6
	s_mov_b32 s12, 0xc0c0500
	s_waitcnt vmcnt(0)
	v_cndmask_b32_e32 v2, 0, v2, vcc
	v_add_u16_e32 v4, v2, v4
	v_add_u16_sdwa v7, v2, v7 dst_sel:DWORD dst_unused:UNUSED_PAD src0_sel:BYTE_3 src1_sel:DWORD
	v_add_u16_sdwa v6, v2, v6 dst_sel:DWORD dst_unused:UNUSED_PAD src0_sel:WORD_1 src1_sel:DWORD
	v_add_u16_sdwa v2, v2, v5 dst_sel:DWORD dst_unused:UNUSED_PAD src0_sel:BYTE_1 src1_sel:DWORD
	v_max_i16_sdwa v4, sext(v4), v34 dst_sel:DWORD dst_unused:UNUSED_PAD src0_sel:BYTE_0 src1_sel:DWORD
	v_max_i16_sdwa v2, sext(v2), v34 dst_sel:DWORD dst_unused:UNUSED_PAD src0_sel:BYTE_0 src1_sel:DWORD
	;; [unrolled: 1-line block ×4, first 2 shown]
	buffer_store_dword v4, off, s[0:3], 0 offset:384
	buffer_store_dword v6, off, s[0:3], 0 offset:396
	;; [unrolled: 1-line block ×4, first 2 shown]
	buffer_store_dword v8, v1, s[20:23], 0 offen
	buffer_load_dword v1, off, s[0:3], 0 offset:164
	s_nop 0
	buffer_load_dword v2, off, s[0:3], 0 offset:168
	buffer_load_dword v4, off, s[0:3], 0 offset:172
	;; [unrolled: 1-line block ×3, first 2 shown]
	v_cmp_gt_i32_e32 vcc, s16, v41
	s_and_b64 s[6:7], s[8:9], vcc
	v_add_u32_e32 v6, s13, v0
	v_cndmask_b32_e64 v7, v3, 0, s[6:7]
	v_add_u32_e32 v7, v7, v6
	v_cmp_gt_i32_e64 s[6:7], s14, v42
	s_and_b64 s[8:9], s[6:7], vcc
	v_add_u32_e32 v6, s10, v6
	s_and_b64 s[6:7], s[6:7], s[4:5]
	v_add_u32_e32 v0, s10, v0
	s_waitcnt vmcnt(3)
	v_lshlrev_b32_e32 v1, 8, v1
	s_waitcnt vmcnt(2)
	v_lshlrev_b32_e32 v2, 16, v2
	;; [unrolled: 2-line block ×3, first 2 shown]
	v_and_b32_e32 v2, 0xff0000, v2
	s_waitcnt vmcnt(0)
	v_perm_b32 v1, v1, v5, s12
	v_or3_b32 v1, v1, v2, v4
	buffer_store_dword v1, v7, s[20:23], 0 offen
	buffer_load_dword v1, off, s[0:3], 0 offset:196
	s_nop 0
	buffer_load_dword v2, off, s[0:3], 0 offset:200
	buffer_load_dword v4, off, s[0:3], 0 offset:204
	;; [unrolled: 1-line block ×3, first 2 shown]
	v_cndmask_b32_e64 v7, v3, 0, s[8:9]
	v_add_u32_e32 v7, v7, v6
	v_add_u32_e32 v6, s10, v6
	s_waitcnt vmcnt(3)
	v_lshlrev_b32_e32 v1, 8, v1
	s_waitcnt vmcnt(2)
	v_lshlrev_b32_e32 v2, 16, v2
	;; [unrolled: 2-line block ×3, first 2 shown]
	v_and_b32_e32 v2, 0xff0000, v2
	s_waitcnt vmcnt(0)
	v_perm_b32 v1, v1, v5, s12
	v_or3_b32 v1, v1, v2, v4
	buffer_store_dword v1, v7, s[20:23], 0 offen
	buffer_load_dword v1, off, s[0:3], 0 offset:180
	s_nop 0
	buffer_load_dword v2, off, s[0:3], 0 offset:184
	buffer_load_dword v4, off, s[0:3], 0 offset:188
	;; [unrolled: 1-line block ×3, first 2 shown]
	v_cndmask_b32_e64 v7, v3, 0, s[6:7]
	v_add_u32_e32 v7, v0, v7
	v_cmp_gt_i32_e64 s[6:7], s14, v43
	s_and_b64 s[8:9], s[6:7], s[4:5]
	s_and_b64 s[6:7], s[6:7], vcc
	s_waitcnt vmcnt(3)
	v_lshlrev_b32_e32 v1, 8, v1
	s_waitcnt vmcnt(2)
	v_lshlrev_b32_e32 v2, 16, v2
	;; [unrolled: 2-line block ×3, first 2 shown]
	v_and_b32_e32 v2, 0xff0000, v2
	s_waitcnt vmcnt(0)
	v_perm_b32 v1, v1, v5, s12
	v_or3_b32 v1, v1, v2, v4
	buffer_store_dword v1, v7, s[20:23], 0 offen
	buffer_load_dword v1, off, s[0:3], 0 offset:212
	s_nop 0
	buffer_load_dword v2, off, s[0:3], 0 offset:216
	buffer_load_dword v4, off, s[0:3], 0 offset:220
	;; [unrolled: 1-line block ×3, first 2 shown]
	v_cndmask_b32_e64 v7, v3, 0, s[8:9]
	v_add3_u32 v0, v7, s10, v0
	s_waitcnt vmcnt(3)
	v_lshlrev_b32_e32 v1, 8, v1
	s_waitcnt vmcnt(2)
	v_lshlrev_b32_e32 v2, 16, v2
	;; [unrolled: 2-line block ×3, first 2 shown]
	v_and_b32_e32 v2, 0xff0000, v2
	s_waitcnt vmcnt(0)
	v_perm_b32 v1, v1, v5, s12
	v_or3_b32 v1, v1, v2, v4
	buffer_store_dword v1, v0, s[20:23], 0 offen
	buffer_load_dword v0, off, s[0:3], 0 offset:228
	s_nop 0
	buffer_load_dword v1, off, s[0:3], 0 offset:232
	buffer_load_dword v2, off, s[0:3], 0 offset:236
	;; [unrolled: 1-line block ×3, first 2 shown]
	v_cndmask_b32_e64 v5, v3, 0, s[6:7]
	v_add_u32_e32 v5, v6, v5
	v_cmp_gt_i32_e64 s[6:7], s14, v44
	s_and_b64 s[8:9], s[6:7], vcc
	v_add_u32_e32 v6, s10, v6
	s_and_b64 s[6:7], s[6:7], s[4:5]
	s_waitcnt vmcnt(3)
	v_lshlrev_b32_e32 v0, 8, v0
	s_waitcnt vmcnt(2)
	v_lshlrev_b32_e32 v1, 16, v1
	;; [unrolled: 2-line block ×3, first 2 shown]
	v_and_b32_e32 v1, 0xff0000, v1
	s_waitcnt vmcnt(0)
	v_perm_b32 v0, v0, v4, s12
	v_or3_b32 v0, v0, v1, v2
	buffer_store_dword v0, v5, s[20:23], 0 offen
	buffer_load_dword v0, off, s[0:3], 0 offset:260
	s_nop 0
	buffer_load_dword v1, off, s[0:3], 0 offset:264
	buffer_load_dword v2, off, s[0:3], 0 offset:268
	;; [unrolled: 1-line block ×3, first 2 shown]
	v_cndmask_b32_e64 v5, v3, 0, s[8:9]
	v_add_u32_e32 v5, v6, v5
	v_subrev_u32_e32 v6, s13, v6
	s_waitcnt vmcnt(3)
	v_lshlrev_b32_e32 v0, 8, v0
	s_waitcnt vmcnt(2)
	v_lshlrev_b32_e32 v1, 16, v1
	s_waitcnt vmcnt(1)
	v_lshlrev_b32_e32 v2, 24, v2
	v_and_b32_e32 v1, 0xff0000, v1
	s_waitcnt vmcnt(0)
	v_perm_b32 v0, v0, v4, s12
	v_or3_b32 v0, v0, v1, v2
	buffer_store_dword v0, v5, s[20:23], 0 offen
	buffer_load_dword v0, off, s[0:3], 0 offset:244
	s_nop 0
	buffer_load_dword v1, off, s[0:3], 0 offset:248
	buffer_load_dword v2, off, s[0:3], 0 offset:252
	buffer_load_dword v4, off, s[0:3], 0 offset:240
	v_cndmask_b32_e64 v5, v3, 0, s[6:7]
	v_add_u32_e32 v5, v6, v5
	v_cmp_gt_i32_e64 s[6:7], s14, v10
	s_and_b64 s[8:9], s[6:7], s[4:5]
	s_and_b64 s[6:7], s[6:7], vcc
	s_waitcnt vmcnt(3)
	v_lshlrev_b32_e32 v0, 8, v0
	s_waitcnt vmcnt(2)
	v_lshlrev_b32_e32 v1, 16, v1
	;; [unrolled: 2-line block ×3, first 2 shown]
	v_and_b32_e32 v1, 0xff0000, v1
	s_waitcnt vmcnt(0)
	v_perm_b32 v0, v0, v4, s12
	v_or3_b32 v0, v0, v1, v2
	buffer_store_dword v0, v5, s[20:23], 0 offen
	buffer_load_dword v0, off, s[0:3], 0 offset:372
	s_nop 0
	buffer_load_dword v1, off, s[0:3], 0 offset:376
	buffer_load_dword v2, off, s[0:3], 0 offset:380
	buffer_load_dword v4, off, s[0:3], 0 offset:368
	v_cndmask_b32_e64 v5, v3, 0, s[8:9]
	v_add3_u32 v5, v5, s15, v6
	s_add_i32 s8, s11, s10
	v_lshl_add_u32 v6, s8, 6, v6
	s_waitcnt vmcnt(3)
	v_lshlrev_b32_e32 v0, 8, v0
	s_waitcnt vmcnt(2)
	v_lshlrev_b32_e32 v1, 16, v1
	;; [unrolled: 2-line block ×3, first 2 shown]
	v_and_b32_e32 v1, 0xff0000, v1
	s_waitcnt vmcnt(0)
	v_perm_b32 v0, v0, v4, s12
	v_or3_b32 v0, v0, v1, v2
	buffer_store_dword v0, v5, s[20:23], 0 offen
	buffer_load_dword v0, off, s[0:3], 0 offset:388
	s_nop 0
	buffer_load_dword v1, off, s[0:3], 0 offset:392
	buffer_load_dword v2, off, s[0:3], 0 offset:396
	;; [unrolled: 1-line block ×3, first 2 shown]
	v_cndmask_b32_e64 v5, v3, 0, s[6:7]
	v_add_u32_e32 v5, v6, v5
	v_cmp_ge_i32_e64 s[6:7], s14, v10
	s_and_b64 s[6:7], s[6:7], vcc
	v_subrev_u32_e32 v6, s10, v6
	s_waitcnt vmcnt(3)
	v_lshlrev_b32_e32 v0, 8, v0
	s_waitcnt vmcnt(2)
	v_lshlrev_b32_e32 v1, 16, v1
	;; [unrolled: 2-line block ×3, first 2 shown]
	v_and_b32_e32 v1, 0xff0000, v1
	s_waitcnt vmcnt(0)
	v_perm_b32 v0, v0, v4, s12
	v_or3_b32 v0, v0, v1, v2
	buffer_store_dword v0, v5, s[20:23], 0 offen
	buffer_load_dword v0, off, s[0:3], 0 offset:356
	s_nop 0
	buffer_load_dword v1, off, s[0:3], 0 offset:360
	buffer_load_dword v2, off, s[0:3], 0 offset:364
	;; [unrolled: 1-line block ×3, first 2 shown]
	v_cndmask_b32_e64 v5, v3, 0, s[6:7]
	v_add_u32_e32 v5, v6, v5
	v_cmp_gt_i32_e64 s[6:7], s14, v18
	s_and_b64 s[6:7], s[6:7], s[4:5]
	v_subrev_u32_e32 v6, s13, v6
	s_waitcnt vmcnt(3)
	v_lshlrev_b32_e32 v0, 8, v0
	s_waitcnt vmcnt(2)
	v_lshlrev_b32_e32 v1, 16, v1
	;; [unrolled: 2-line block ×3, first 2 shown]
	v_and_b32_e32 v1, 0xff0000, v1
	s_waitcnt vmcnt(0)
	v_perm_b32 v0, v0, v4, s12
	v_or3_b32 v0, v0, v1, v2
	buffer_store_dword v0, v5, s[20:23], 0 offen
	buffer_load_dword v0, off, s[0:3], 0 offset:340
	s_nop 0
	buffer_load_dword v1, off, s[0:3], 0 offset:344
	buffer_load_dword v2, off, s[0:3], 0 offset:348
	;; [unrolled: 1-line block ×3, first 2 shown]
	v_cndmask_b32_e64 v5, v3, 0, s[6:7]
	v_add_u32_e32 v5, v6, v5
	v_cmp_ge_i32_e64 s[6:7], s14, v18
	s_and_b64 s[6:7], s[6:7], s[4:5]
	v_subrev_u32_e32 v6, s10, v6
	s_waitcnt vmcnt(3)
	v_lshlrev_b32_e32 v0, 8, v0
	s_waitcnt vmcnt(2)
	v_lshlrev_b32_e32 v1, 16, v1
	;; [unrolled: 2-line block ×3, first 2 shown]
	v_and_b32_e32 v1, 0xff0000, v1
	s_waitcnt vmcnt(0)
	v_perm_b32 v0, v0, v4, s12
	v_or3_b32 v0, v0, v1, v2
	buffer_store_dword v0, v5, s[20:23], 0 offen
	buffer_load_dword v0, off, s[0:3], 0 offset:308
	s_nop 0
	buffer_load_dword v1, off, s[0:3], 0 offset:312
	buffer_load_dword v2, off, s[0:3], 0 offset:316
	;; [unrolled: 1-line block ×3, first 2 shown]
	v_cndmask_b32_e64 v5, v3, 0, s[6:7]
	v_add_u32_e32 v5, v6, v5
	v_cmp_gt_i32_e64 s[6:7], s14, v24
	s_and_b64 s[6:7], s[6:7], vcc
	v_add_u32_e32 v6, s13, v6
	s_waitcnt vmcnt(3)
	v_lshlrev_b32_e32 v0, 8, v0
	s_waitcnt vmcnt(2)
	v_lshlrev_b32_e32 v1, 16, v1
	;; [unrolled: 2-line block ×3, first 2 shown]
	v_and_b32_e32 v1, 0xff0000, v1
	s_waitcnt vmcnt(0)
	v_perm_b32 v0, v0, v4, s12
	v_or3_b32 v0, v0, v1, v2
	buffer_store_dword v0, v5, s[20:23], 0 offen
	buffer_load_dword v0, off, s[0:3], 0 offset:324
	s_nop 0
	buffer_load_dword v1, off, s[0:3], 0 offset:328
	buffer_load_dword v2, off, s[0:3], 0 offset:332
	;; [unrolled: 1-line block ×3, first 2 shown]
	v_cndmask_b32_e64 v5, v3, 0, s[6:7]
	v_add_u32_e32 v5, v6, v5
	v_cmp_ge_i32_e64 s[6:7], s14, v24
	s_and_b64 s[6:7], s[6:7], vcc
	v_subrev_u32_e32 v6, s10, v6
	v_cmp_gt_i32_e32 vcc, s14, v19
	s_and_b64 s[4:5], vcc, s[4:5]
	s_waitcnt vmcnt(3)
	v_lshlrev_b32_e32 v0, 8, v0
	s_waitcnt vmcnt(2)
	v_lshlrev_b32_e32 v1, 16, v1
	;; [unrolled: 2-line block ×3, first 2 shown]
	v_and_b32_e32 v1, 0xff0000, v1
	s_waitcnt vmcnt(0)
	v_perm_b32 v0, v0, v4, s12
	v_or3_b32 v0, v0, v1, v2
	buffer_store_dword v0, v5, s[20:23], 0 offen
	buffer_load_dword v0, off, s[0:3], 0 offset:292
	s_nop 0
	buffer_load_dword v1, off, s[0:3], 0 offset:296
	buffer_load_dword v2, off, s[0:3], 0 offset:300
	;; [unrolled: 1-line block ×3, first 2 shown]
	v_cndmask_b32_e64 v5, v3, 0, s[6:7]
	v_add_u32_e32 v5, v6, v5
	v_cndmask_b32_e64 v3, v3, 0, s[4:5]
	v_subrev_u32_e32 v3, s13, v3
	s_waitcnt vmcnt(3)
	v_lshlrev_b32_e32 v0, 8, v0
	s_waitcnt vmcnt(2)
	v_lshlrev_b32_e32 v1, 16, v1
	;; [unrolled: 2-line block ×3, first 2 shown]
	v_and_b32_e32 v1, 0xff0000, v1
	s_waitcnt vmcnt(0)
	v_perm_b32 v0, v0, v4, s12
	v_or3_b32 v0, v0, v1, v2
	buffer_store_dword v0, v5, s[20:23], 0 offen
	buffer_load_dword v0, off, s[0:3], 0 offset:276
	s_nop 0
	buffer_load_dword v1, off, s[0:3], 0 offset:280
	buffer_load_dword v2, off, s[0:3], 0 offset:284
	;; [unrolled: 1-line block ×3, first 2 shown]
	s_waitcnt vmcnt(3)
	v_lshlrev_b32_e32 v0, 8, v0
	s_waitcnt vmcnt(2)
	v_lshlrev_b32_e32 v1, 16, v1
	;; [unrolled: 2-line block ×3, first 2 shown]
	v_and_b32_e32 v1, 0xff0000, v1
	s_waitcnt vmcnt(0)
	v_perm_b32 v0, v0, v4, s12
	v_or3_b32 v0, v0, v1, v2
	v_add_u32_e32 v1, v3, v6
	buffer_store_dword v0, v1, s[20:23], 0 offen
	s_endpgm
	.section	.rodata,"a",@progbits
	.p2align	6, 0x0
	.amdhsa_kernel _ZN2ck16tensor_operation6device12_GLOBAL__N_137kernel_grouped_conv_fwd_dl_multiple_dINS_32GridwiseGemmDlMultipleD_km_kn_mnILi256EaiNS_5TupleIJaEEEaNS0_12element_wise11PassThroughES8_NS7_7AddReluELNS_25InMemoryDataOperationEnumE0ENS_16TensorDescriptorINS5_IJNS_5EmbedINS5_IJiiiEEESD_Lb0EEENS_11PassThroughIiEENS_3PadIiiiLb0EEESG_SG_NSC_INS5_IJiiEEESJ_Lb0EEESG_NS_23Merge_v2_magic_divisionISJ_EESM_NS_8RightPadIiiLb0EEESO_NS_7UnMergeISJ_Lb0EEESG_EEENS5_IJNS_8SequenceIJLi0EEEENSS_IJLi1EEEENSS_IJLi2EEEENSS_IJLi3EEEENSS_IJLi4EEEENSS_IJLi5EEEENSS_IJLi6EEEENSS_IJLi7ELi9EEEENSS_IJLi8ELi10EEEENSS_IJLi11EEEENSS_IJLi12EEEENSS_IJLi14EEEENSS_IJLi13EEEEEEENS5_IJNSS_IJLi1ELi2ELi3EEEESX_SY_SZ_NSS_IJLi7EEEENSS_IJLi8ELi9EEEENSS_IJLi10EEEES12_S13_S15_S14_NSS_IJLi15ELi16EEEENSS_IJLi17EEEEEEENSS_IJLi15ELi17ELi16EEEElEENSB_INS5_IJSQ_SO_SO_SQ_SG_EEENS5_IJST_SU_SV_SX_SW_EEENS5_IJNSS_IJLi1ELi2EEEESW_SX_NSS_IJLi5ELi6EEEES18_EEENSS_IJLi5ELi7ELi6EEEElEENSB_INS5_IJSK_SO_SO_EEENS5_IJST_SU_SV_EEENS5_IJS1I_SW_SX_EEENSS_IJLi3ELi4EEEElEELi128ELi128ELi16ELi4ELi4ELi4ELi1ENSS_IJLi8ELi2EEEES1S_NSS_IJLi8ELi1ELi1ELi4EEEENSS_IJLi2ELi1ELi128ELi1EEEENSS_IJLi1ELi2ELi0ELi3EEEES1V_NSS_IJLi4ELi1ELi1ELi4EEEES1V_NSS_IJLi1ELi1ELi1ELi4EEEES1T_S1U_S1V_S1V_S1W_S1V_S1X_NSS_IJLi0ELi1ELi2ELi3ELi4ELi5EEEELi5ELi4EEEaNS5_IJPKaEEEaS8_S8_S9_NSB_INS5_IJSE_SG_SI_SG_SG_SK_SG_SM_SM_SO_SO_SQ_SG_SG_NSP_INS5_IJiNS_17integral_constantIiLi128EEEEEELb0EEENSF_INS23_IiLi4EEEEEEEENS5_IJST_SU_SV_SW_SX_SY_SZ_S10_S11_S12_S13_S14_S15_NSS_IJLi15EEEES1C_NSS_IJLi16EEEEEEENS5_IJS17_SX_SY_SZ_S18_S19_S1A_S12_S13_S15_S14_S1B_S1C_NSS_IJLi18EEEENSS_IJLi19ELi20EEEENSS_IJLi21EEEEEEENSS_IJLi18ELi19ELi20ELi21EEEElEENSB_INS5_IJSQ_SO_SO_SQ_SG_SG_S26_S28_EEENS5_IJST_SU_SV_SX_SW_SY_S18_SZ_EEENS5_IJS1I_SW_SX_S1J_S18_NSS_IJLi8EEEENSS_IJLi9ELi10EEEES12_EEENSS_IJLi8ELi9ELi10ELi11EEEElEENS5_IJNSB_INS5_IJSK_SO_SO_NSP_INS5_IJiNS23_IiLi2EEENS23_IiLi64EEEEEELb0EEES2T_EEENS5_IJST_SU_SV_SW_SX_EEENS5_IJS1I_SW_SX_NSS_IJLi5ELi6ELi7EEEENSS_IJLi8ELi9ELi10EEEEEEENSS_IJLi5ELi6ELi7ELi8ELi9ELi10EEEElEEEEES30_NS_31BlockToCTileMap_M00_N00_M01_N01ILi128ELi128ES1R_Lb0EEENS1_30ComputePtrOffsetOfStridedBatchILi1ELi1ELi1EvEELb0ELb0EEEvPKT0_S38_T1_PT2_T3_T4_T5_iT6_T7_T8_T9_T10_T11_
		.amdhsa_group_segment_fixed_size 32768
		.amdhsa_private_segment_fixed_size 448
		.amdhsa_kernarg_size 904
		.amdhsa_user_sgpr_count 8
		.amdhsa_user_sgpr_private_segment_buffer 1
		.amdhsa_user_sgpr_dispatch_ptr 0
		.amdhsa_user_sgpr_queue_ptr 0
		.amdhsa_user_sgpr_kernarg_segment_ptr 1
		.amdhsa_user_sgpr_dispatch_id 0
		.amdhsa_user_sgpr_flat_scratch_init 1
		.amdhsa_user_sgpr_kernarg_preload_length 0
		.amdhsa_user_sgpr_kernarg_preload_offset 0
		.amdhsa_user_sgpr_private_segment_size 0
		.amdhsa_uses_dynamic_stack 0
		.amdhsa_system_sgpr_private_segment_wavefront_offset 1
		.amdhsa_system_sgpr_workgroup_id_x 1
		.amdhsa_system_sgpr_workgroup_id_y 0
		.amdhsa_system_sgpr_workgroup_id_z 0
		.amdhsa_system_sgpr_workgroup_info 0
		.amdhsa_system_vgpr_workitem_id 0
		.amdhsa_next_free_vgpr 60
		.amdhsa_next_free_sgpr 66
		.amdhsa_accum_offset 60
		.amdhsa_reserve_vcc 1
		.amdhsa_reserve_flat_scratch 1
		.amdhsa_float_round_mode_32 0
		.amdhsa_float_round_mode_16_64 0
		.amdhsa_float_denorm_mode_32 3
		.amdhsa_float_denorm_mode_16_64 3
		.amdhsa_dx10_clamp 1
		.amdhsa_ieee_mode 1
		.amdhsa_fp16_overflow 0
		.amdhsa_tg_split 0
		.amdhsa_exception_fp_ieee_invalid_op 0
		.amdhsa_exception_fp_denorm_src 0
		.amdhsa_exception_fp_ieee_div_zero 0
		.amdhsa_exception_fp_ieee_overflow 0
		.amdhsa_exception_fp_ieee_underflow 0
		.amdhsa_exception_fp_ieee_inexact 0
		.amdhsa_exception_int_div_zero 0
	.end_amdhsa_kernel
	.section	.text._ZN2ck16tensor_operation6device12_GLOBAL__N_137kernel_grouped_conv_fwd_dl_multiple_dINS_32GridwiseGemmDlMultipleD_km_kn_mnILi256EaiNS_5TupleIJaEEEaNS0_12element_wise11PassThroughES8_NS7_7AddReluELNS_25InMemoryDataOperationEnumE0ENS_16TensorDescriptorINS5_IJNS_5EmbedINS5_IJiiiEEESD_Lb0EEENS_11PassThroughIiEENS_3PadIiiiLb0EEESG_SG_NSC_INS5_IJiiEEESJ_Lb0EEESG_NS_23Merge_v2_magic_divisionISJ_EESM_NS_8RightPadIiiLb0EEESO_NS_7UnMergeISJ_Lb0EEESG_EEENS5_IJNS_8SequenceIJLi0EEEENSS_IJLi1EEEENSS_IJLi2EEEENSS_IJLi3EEEENSS_IJLi4EEEENSS_IJLi5EEEENSS_IJLi6EEEENSS_IJLi7ELi9EEEENSS_IJLi8ELi10EEEENSS_IJLi11EEEENSS_IJLi12EEEENSS_IJLi14EEEENSS_IJLi13EEEEEEENS5_IJNSS_IJLi1ELi2ELi3EEEESX_SY_SZ_NSS_IJLi7EEEENSS_IJLi8ELi9EEEENSS_IJLi10EEEES12_S13_S15_S14_NSS_IJLi15ELi16EEEENSS_IJLi17EEEEEEENSS_IJLi15ELi17ELi16EEEElEENSB_INS5_IJSQ_SO_SO_SQ_SG_EEENS5_IJST_SU_SV_SX_SW_EEENS5_IJNSS_IJLi1ELi2EEEESW_SX_NSS_IJLi5ELi6EEEES18_EEENSS_IJLi5ELi7ELi6EEEElEENSB_INS5_IJSK_SO_SO_EEENS5_IJST_SU_SV_EEENS5_IJS1I_SW_SX_EEENSS_IJLi3ELi4EEEElEELi128ELi128ELi16ELi4ELi4ELi4ELi1ENSS_IJLi8ELi2EEEES1S_NSS_IJLi8ELi1ELi1ELi4EEEENSS_IJLi2ELi1ELi128ELi1EEEENSS_IJLi1ELi2ELi0ELi3EEEES1V_NSS_IJLi4ELi1ELi1ELi4EEEES1V_NSS_IJLi1ELi1ELi1ELi4EEEES1T_S1U_S1V_S1V_S1W_S1V_S1X_NSS_IJLi0ELi1ELi2ELi3ELi4ELi5EEEELi5ELi4EEEaNS5_IJPKaEEEaS8_S8_S9_NSB_INS5_IJSE_SG_SI_SG_SG_SK_SG_SM_SM_SO_SO_SQ_SG_SG_NSP_INS5_IJiNS_17integral_constantIiLi128EEEEEELb0EEENSF_INS23_IiLi4EEEEEEEENS5_IJST_SU_SV_SW_SX_SY_SZ_S10_S11_S12_S13_S14_S15_NSS_IJLi15EEEES1C_NSS_IJLi16EEEEEEENS5_IJS17_SX_SY_SZ_S18_S19_S1A_S12_S13_S15_S14_S1B_S1C_NSS_IJLi18EEEENSS_IJLi19ELi20EEEENSS_IJLi21EEEEEEENSS_IJLi18ELi19ELi20ELi21EEEElEENSB_INS5_IJSQ_SO_SO_SQ_SG_SG_S26_S28_EEENS5_IJST_SU_SV_SX_SW_SY_S18_SZ_EEENS5_IJS1I_SW_SX_S1J_S18_NSS_IJLi8EEEENSS_IJLi9ELi10EEEES12_EEENSS_IJLi8ELi9ELi10ELi11EEEElEENS5_IJNSB_INS5_IJSK_SO_SO_NSP_INS5_IJiNS23_IiLi2EEENS23_IiLi64EEEEEELb0EEES2T_EEENS5_IJST_SU_SV_SW_SX_EEENS5_IJS1I_SW_SX_NSS_IJLi5ELi6ELi7EEEENSS_IJLi8ELi9ELi10EEEEEEENSS_IJLi5ELi6ELi7ELi8ELi9ELi10EEEElEEEEES30_NS_31BlockToCTileMap_M00_N00_M01_N01ILi128ELi128ES1R_Lb0EEENS1_30ComputePtrOffsetOfStridedBatchILi1ELi1ELi1EvEELb0ELb0EEEvPKT0_S38_T1_PT2_T3_T4_T5_iT6_T7_T8_T9_T10_T11_,"axG",@progbits,_ZN2ck16tensor_operation6device12_GLOBAL__N_137kernel_grouped_conv_fwd_dl_multiple_dINS_32GridwiseGemmDlMultipleD_km_kn_mnILi256EaiNS_5TupleIJaEEEaNS0_12element_wise11PassThroughES8_NS7_7AddReluELNS_25InMemoryDataOperationEnumE0ENS_16TensorDescriptorINS5_IJNS_5EmbedINS5_IJiiiEEESD_Lb0EEENS_11PassThroughIiEENS_3PadIiiiLb0EEESG_SG_NSC_INS5_IJiiEEESJ_Lb0EEESG_NS_23Merge_v2_magic_divisionISJ_EESM_NS_8RightPadIiiLb0EEESO_NS_7UnMergeISJ_Lb0EEESG_EEENS5_IJNS_8SequenceIJLi0EEEENSS_IJLi1EEEENSS_IJLi2EEEENSS_IJLi3EEEENSS_IJLi4EEEENSS_IJLi5EEEENSS_IJLi6EEEENSS_IJLi7ELi9EEEENSS_IJLi8ELi10EEEENSS_IJLi11EEEENSS_IJLi12EEEENSS_IJLi14EEEENSS_IJLi13EEEEEEENS5_IJNSS_IJLi1ELi2ELi3EEEESX_SY_SZ_NSS_IJLi7EEEENSS_IJLi8ELi9EEEENSS_IJLi10EEEES12_S13_S15_S14_NSS_IJLi15ELi16EEEENSS_IJLi17EEEEEEENSS_IJLi15ELi17ELi16EEEElEENSB_INS5_IJSQ_SO_SO_SQ_SG_EEENS5_IJST_SU_SV_SX_SW_EEENS5_IJNSS_IJLi1ELi2EEEESW_SX_NSS_IJLi5ELi6EEEES18_EEENSS_IJLi5ELi7ELi6EEEElEENSB_INS5_IJSK_SO_SO_EEENS5_IJST_SU_SV_EEENS5_IJS1I_SW_SX_EEENSS_IJLi3ELi4EEEElEELi128ELi128ELi16ELi4ELi4ELi4ELi1ENSS_IJLi8ELi2EEEES1S_NSS_IJLi8ELi1ELi1ELi4EEEENSS_IJLi2ELi1ELi128ELi1EEEENSS_IJLi1ELi2ELi0ELi3EEEES1V_NSS_IJLi4ELi1ELi1ELi4EEEES1V_NSS_IJLi1ELi1ELi1ELi4EEEES1T_S1U_S1V_S1V_S1W_S1V_S1X_NSS_IJLi0ELi1ELi2ELi3ELi4ELi5EEEELi5ELi4EEEaNS5_IJPKaEEEaS8_S8_S9_NSB_INS5_IJSE_SG_SI_SG_SG_SK_SG_SM_SM_SO_SO_SQ_SG_SG_NSP_INS5_IJiNS_17integral_constantIiLi128EEEEEELb0EEENSF_INS23_IiLi4EEEEEEEENS5_IJST_SU_SV_SW_SX_SY_SZ_S10_S11_S12_S13_S14_S15_NSS_IJLi15EEEES1C_NSS_IJLi16EEEEEEENS5_IJS17_SX_SY_SZ_S18_S19_S1A_S12_S13_S15_S14_S1B_S1C_NSS_IJLi18EEEENSS_IJLi19ELi20EEEENSS_IJLi21EEEEEEENSS_IJLi18ELi19ELi20ELi21EEEElEENSB_INS5_IJSQ_SO_SO_SQ_SG_SG_S26_S28_EEENS5_IJST_SU_SV_SX_SW_SY_S18_SZ_EEENS5_IJS1I_SW_SX_S1J_S18_NSS_IJLi8EEEENSS_IJLi9ELi10EEEES12_EEENSS_IJLi8ELi9ELi10ELi11EEEElEENS5_IJNSB_INS5_IJSK_SO_SO_NSP_INS5_IJiNS23_IiLi2EEENS23_IiLi64EEEEEELb0EEES2T_EEENS5_IJST_SU_SV_SW_SX_EEENS5_IJS1I_SW_SX_NSS_IJLi5ELi6ELi7EEEENSS_IJLi8ELi9ELi10EEEEEEENSS_IJLi5ELi6ELi7ELi8ELi9ELi10EEEElEEEEES30_NS_31BlockToCTileMap_M00_N00_M01_N01ILi128ELi128ES1R_Lb0EEENS1_30ComputePtrOffsetOfStridedBatchILi1ELi1ELi1EvEELb0ELb0EEEvPKT0_S38_T1_PT2_T3_T4_T5_iT6_T7_T8_T9_T10_T11_,comdat
.Lfunc_end5:
	.size	_ZN2ck16tensor_operation6device12_GLOBAL__N_137kernel_grouped_conv_fwd_dl_multiple_dINS_32GridwiseGemmDlMultipleD_km_kn_mnILi256EaiNS_5TupleIJaEEEaNS0_12element_wise11PassThroughES8_NS7_7AddReluELNS_25InMemoryDataOperationEnumE0ENS_16TensorDescriptorINS5_IJNS_5EmbedINS5_IJiiiEEESD_Lb0EEENS_11PassThroughIiEENS_3PadIiiiLb0EEESG_SG_NSC_INS5_IJiiEEESJ_Lb0EEESG_NS_23Merge_v2_magic_divisionISJ_EESM_NS_8RightPadIiiLb0EEESO_NS_7UnMergeISJ_Lb0EEESG_EEENS5_IJNS_8SequenceIJLi0EEEENSS_IJLi1EEEENSS_IJLi2EEEENSS_IJLi3EEEENSS_IJLi4EEEENSS_IJLi5EEEENSS_IJLi6EEEENSS_IJLi7ELi9EEEENSS_IJLi8ELi10EEEENSS_IJLi11EEEENSS_IJLi12EEEENSS_IJLi14EEEENSS_IJLi13EEEEEEENS5_IJNSS_IJLi1ELi2ELi3EEEESX_SY_SZ_NSS_IJLi7EEEENSS_IJLi8ELi9EEEENSS_IJLi10EEEES12_S13_S15_S14_NSS_IJLi15ELi16EEEENSS_IJLi17EEEEEEENSS_IJLi15ELi17ELi16EEEElEENSB_INS5_IJSQ_SO_SO_SQ_SG_EEENS5_IJST_SU_SV_SX_SW_EEENS5_IJNSS_IJLi1ELi2EEEESW_SX_NSS_IJLi5ELi6EEEES18_EEENSS_IJLi5ELi7ELi6EEEElEENSB_INS5_IJSK_SO_SO_EEENS5_IJST_SU_SV_EEENS5_IJS1I_SW_SX_EEENSS_IJLi3ELi4EEEElEELi128ELi128ELi16ELi4ELi4ELi4ELi1ENSS_IJLi8ELi2EEEES1S_NSS_IJLi8ELi1ELi1ELi4EEEENSS_IJLi2ELi1ELi128ELi1EEEENSS_IJLi1ELi2ELi0ELi3EEEES1V_NSS_IJLi4ELi1ELi1ELi4EEEES1V_NSS_IJLi1ELi1ELi1ELi4EEEES1T_S1U_S1V_S1V_S1W_S1V_S1X_NSS_IJLi0ELi1ELi2ELi3ELi4ELi5EEEELi5ELi4EEEaNS5_IJPKaEEEaS8_S8_S9_NSB_INS5_IJSE_SG_SI_SG_SG_SK_SG_SM_SM_SO_SO_SQ_SG_SG_NSP_INS5_IJiNS_17integral_constantIiLi128EEEEEELb0EEENSF_INS23_IiLi4EEEEEEEENS5_IJST_SU_SV_SW_SX_SY_SZ_S10_S11_S12_S13_S14_S15_NSS_IJLi15EEEES1C_NSS_IJLi16EEEEEEENS5_IJS17_SX_SY_SZ_S18_S19_S1A_S12_S13_S15_S14_S1B_S1C_NSS_IJLi18EEEENSS_IJLi19ELi20EEEENSS_IJLi21EEEEEEENSS_IJLi18ELi19ELi20ELi21EEEElEENSB_INS5_IJSQ_SO_SO_SQ_SG_SG_S26_S28_EEENS5_IJST_SU_SV_SX_SW_SY_S18_SZ_EEENS5_IJS1I_SW_SX_S1J_S18_NSS_IJLi8EEEENSS_IJLi9ELi10EEEES12_EEENSS_IJLi8ELi9ELi10ELi11EEEElEENS5_IJNSB_INS5_IJSK_SO_SO_NSP_INS5_IJiNS23_IiLi2EEENS23_IiLi64EEEEEELb0EEES2T_EEENS5_IJST_SU_SV_SW_SX_EEENS5_IJS1I_SW_SX_NSS_IJLi5ELi6ELi7EEEENSS_IJLi8ELi9ELi10EEEEEEENSS_IJLi5ELi6ELi7ELi8ELi9ELi10EEEElEEEEES30_NS_31BlockToCTileMap_M00_N00_M01_N01ILi128ELi128ES1R_Lb0EEENS1_30ComputePtrOffsetOfStridedBatchILi1ELi1ELi1EvEELb0ELb0EEEvPKT0_S38_T1_PT2_T3_T4_T5_iT6_T7_T8_T9_T10_T11_, .Lfunc_end5-_ZN2ck16tensor_operation6device12_GLOBAL__N_137kernel_grouped_conv_fwd_dl_multiple_dINS_32GridwiseGemmDlMultipleD_km_kn_mnILi256EaiNS_5TupleIJaEEEaNS0_12element_wise11PassThroughES8_NS7_7AddReluELNS_25InMemoryDataOperationEnumE0ENS_16TensorDescriptorINS5_IJNS_5EmbedINS5_IJiiiEEESD_Lb0EEENS_11PassThroughIiEENS_3PadIiiiLb0EEESG_SG_NSC_INS5_IJiiEEESJ_Lb0EEESG_NS_23Merge_v2_magic_divisionISJ_EESM_NS_8RightPadIiiLb0EEESO_NS_7UnMergeISJ_Lb0EEESG_EEENS5_IJNS_8SequenceIJLi0EEEENSS_IJLi1EEEENSS_IJLi2EEEENSS_IJLi3EEEENSS_IJLi4EEEENSS_IJLi5EEEENSS_IJLi6EEEENSS_IJLi7ELi9EEEENSS_IJLi8ELi10EEEENSS_IJLi11EEEENSS_IJLi12EEEENSS_IJLi14EEEENSS_IJLi13EEEEEEENS5_IJNSS_IJLi1ELi2ELi3EEEESX_SY_SZ_NSS_IJLi7EEEENSS_IJLi8ELi9EEEENSS_IJLi10EEEES12_S13_S15_S14_NSS_IJLi15ELi16EEEENSS_IJLi17EEEEEEENSS_IJLi15ELi17ELi16EEEElEENSB_INS5_IJSQ_SO_SO_SQ_SG_EEENS5_IJST_SU_SV_SX_SW_EEENS5_IJNSS_IJLi1ELi2EEEESW_SX_NSS_IJLi5ELi6EEEES18_EEENSS_IJLi5ELi7ELi6EEEElEENSB_INS5_IJSK_SO_SO_EEENS5_IJST_SU_SV_EEENS5_IJS1I_SW_SX_EEENSS_IJLi3ELi4EEEElEELi128ELi128ELi16ELi4ELi4ELi4ELi1ENSS_IJLi8ELi2EEEES1S_NSS_IJLi8ELi1ELi1ELi4EEEENSS_IJLi2ELi1ELi128ELi1EEEENSS_IJLi1ELi2ELi0ELi3EEEES1V_NSS_IJLi4ELi1ELi1ELi4EEEES1V_NSS_IJLi1ELi1ELi1ELi4EEEES1T_S1U_S1V_S1V_S1W_S1V_S1X_NSS_IJLi0ELi1ELi2ELi3ELi4ELi5EEEELi5ELi4EEEaNS5_IJPKaEEEaS8_S8_S9_NSB_INS5_IJSE_SG_SI_SG_SG_SK_SG_SM_SM_SO_SO_SQ_SG_SG_NSP_INS5_IJiNS_17integral_constantIiLi128EEEEEELb0EEENSF_INS23_IiLi4EEEEEEEENS5_IJST_SU_SV_SW_SX_SY_SZ_S10_S11_S12_S13_S14_S15_NSS_IJLi15EEEES1C_NSS_IJLi16EEEEEEENS5_IJS17_SX_SY_SZ_S18_S19_S1A_S12_S13_S15_S14_S1B_S1C_NSS_IJLi18EEEENSS_IJLi19ELi20EEEENSS_IJLi21EEEEEEENSS_IJLi18ELi19ELi20ELi21EEEElEENSB_INS5_IJSQ_SO_SO_SQ_SG_SG_S26_S28_EEENS5_IJST_SU_SV_SX_SW_SY_S18_SZ_EEENS5_IJS1I_SW_SX_S1J_S18_NSS_IJLi8EEEENSS_IJLi9ELi10EEEES12_EEENSS_IJLi8ELi9ELi10ELi11EEEElEENS5_IJNSB_INS5_IJSK_SO_SO_NSP_INS5_IJiNS23_IiLi2EEENS23_IiLi64EEEEEELb0EEES2T_EEENS5_IJST_SU_SV_SW_SX_EEENS5_IJS1I_SW_SX_NSS_IJLi5ELi6ELi7EEEENSS_IJLi8ELi9ELi10EEEEEEENSS_IJLi5ELi6ELi7ELi8ELi9ELi10EEEElEEEEES30_NS_31BlockToCTileMap_M00_N00_M01_N01ILi128ELi128ES1R_Lb0EEENS1_30ComputePtrOffsetOfStridedBatchILi1ELi1ELi1EvEELb0ELb0EEEvPKT0_S38_T1_PT2_T3_T4_T5_iT6_T7_T8_T9_T10_T11_
                                        ; -- End function
	.section	.AMDGPU.csdata,"",@progbits
; Kernel info:
; codeLenInByte = 8512
; NumSgprs: 72
; NumVgprs: 60
; NumAgprs: 0
; TotalNumVgprs: 60
; ScratchSize: 448
; MemoryBound: 0
; FloatMode: 240
; IeeeMode: 1
; LDSByteSize: 32768 bytes/workgroup (compile time only)
; SGPRBlocks: 8
; VGPRBlocks: 7
; NumSGPRsForWavesPerEU: 72
; NumVGPRsForWavesPerEU: 60
; AccumOffset: 60
; Occupancy: 2
; WaveLimiterHint : 1
; COMPUTE_PGM_RSRC2:SCRATCH_EN: 1
; COMPUTE_PGM_RSRC2:USER_SGPR: 8
; COMPUTE_PGM_RSRC2:TRAP_HANDLER: 0
; COMPUTE_PGM_RSRC2:TGID_X_EN: 1
; COMPUTE_PGM_RSRC2:TGID_Y_EN: 0
; COMPUTE_PGM_RSRC2:TGID_Z_EN: 0
; COMPUTE_PGM_RSRC2:TIDIG_COMP_CNT: 0
; COMPUTE_PGM_RSRC3_GFX90A:ACCUM_OFFSET: 14
; COMPUTE_PGM_RSRC3_GFX90A:TG_SPLIT: 0
	.section	.text._ZN2ck16tensor_operation6device12_GLOBAL__N_137kernel_grouped_conv_fwd_dl_multiple_dINS_32GridwiseGemmDlMultipleD_km_kn_mnILi256EaiNS_5TupleIJaEEEaNS0_12element_wise11PassThroughES8_NS7_7AddReluELNS_25InMemoryDataOperationEnumE0ENS_16TensorDescriptorINS5_IJNS_5EmbedINS5_IJiiiiEEESD_Lb0EEENS_11PassThroughIiEENS_3PadIiiiLb0EEESI_SG_SG_NSC_INS5_IJiiEEESJ_Lb0EEESK_SG_NS_23Merge_v2_magic_divisionINS5_IJiiiEEEEESN_NS_8RightPadIiiLb0EEESP_NS_7UnMergeISJ_Lb0EEESG_EEENS5_IJNS_8SequenceIJLi0EEEENST_IJLi1EEEENST_IJLi2EEEENST_IJLi3EEEENST_IJLi4EEEENST_IJLi5EEEENST_IJLi6EEEENST_IJLi7EEEENST_IJLi8EEEENST_IJLi9ELi11ELi13EEEENST_IJLi10ELi12ELi14EEEENST_IJLi15EEEENST_IJLi16EEEENST_IJLi18EEEENST_IJLi17EEEEEEENS5_IJNST_IJLi1ELi2ELi3ELi4EEEESZ_S10_S11_S12_NST_IJLi9EEEENST_IJLi10ELi11EEEENST_IJLi12ELi13EEEENST_IJLi14EEEES15_S16_S18_S17_NST_IJLi19ELi20EEEENST_IJLi21EEEEEEENST_IJLi19ELi21ELi20EEEElEENSB_INS5_IJSR_SP_SP_SR_SG_EEENS5_IJSU_SV_SW_SY_SX_EEENS5_IJNST_IJLi1ELi2EEEESX_SY_NST_IJLi5ELi6EEEES11_EEENST_IJLi5ELi7ELi6EEEElEENSB_INS5_IJSK_SP_SP_EEENS5_IJSU_SV_SW_EEENS5_IJS1M_SX_SY_EEENST_IJLi3ELi4EEEElEELi128ELi128ELi16ELi4ELi4ELi4ELi1ENST_IJLi8ELi2EEEES1W_NST_IJLi8ELi1ELi1ELi4EEEENST_IJLi2ELi1ELi128ELi1EEEENST_IJLi1ELi2ELi0ELi3EEEES1Z_NST_IJLi4ELi1ELi1ELi4EEEES1Z_NST_IJLi1ELi1ELi1ELi4EEEES1X_S1Y_S1Z_S1Z_S20_S1Z_S21_NST_IJLi0ELi1ELi2ELi3ELi4ELi5EEEELi5ELi4EEEaNS5_IJPKaEEEaS8_S8_S9_NSB_INS5_IJSE_SG_SI_SI_SG_SG_SK_SK_SG_SN_SN_SP_SP_SR_SG_SG_NSQ_INS5_IJiNS_17integral_constantIiLi128EEEEEELb0EEENSF_INS27_IiLi4EEEEEEEENS5_IJSU_SV_SW_SX_SY_SZ_S10_S11_S12_S13_S14_S15_S16_S17_S18_NST_IJLi19EEEES1G_NST_IJLi20EEEEEEENS5_IJS1A_SZ_S10_S11_S12_S1B_S1C_S1D_S1E_S15_S16_S18_S17_S1F_S1G_NST_IJLi22EEEENST_IJLi23ELi24EEEENST_IJLi25EEEEEEENST_IJLi22ELi23ELi24ELi25EEEElEENSB_INS5_IJSR_SP_SP_SR_SG_SG_S2A_S2C_EEENS5_IJSU_SV_SW_SY_SX_SZ_S11_S10_EEENS5_IJS1M_SX_SY_S1N_S11_S12_NST_IJLi9ELi10EEEENST_IJLi11EEEEEEENST_IJLi8ELi9ELi10ELi11EEEElEENS5_IJNSB_INS5_IJSK_SP_SP_NSQ_INS5_IJiNS27_IiLi2EEENS27_IiLi64EEEEEELb0EEES2X_EEENS5_IJSU_SV_SW_SX_SY_EEENS5_IJS1M_SX_SY_NST_IJLi5ELi6ELi7EEEENST_IJLi8ELi9ELi10EEEEEEENST_IJLi5ELi6ELi7ELi8ELi9ELi10EEEElEEEEES34_NS_31BlockToCTileMap_M00_N00_M01_N01ILi128ELi128ES1V_Lb0EEENS1_30ComputePtrOffsetOfStridedBatchILi1ELi1ELi1EvEELb1ELb1EEEvPKT0_S3C_T1_PT2_T3_T4_T5_iT6_T7_T8_T9_T10_T11_,"axG",@progbits,_ZN2ck16tensor_operation6device12_GLOBAL__N_137kernel_grouped_conv_fwd_dl_multiple_dINS_32GridwiseGemmDlMultipleD_km_kn_mnILi256EaiNS_5TupleIJaEEEaNS0_12element_wise11PassThroughES8_NS7_7AddReluELNS_25InMemoryDataOperationEnumE0ENS_16TensorDescriptorINS5_IJNS_5EmbedINS5_IJiiiiEEESD_Lb0EEENS_11PassThroughIiEENS_3PadIiiiLb0EEESI_SG_SG_NSC_INS5_IJiiEEESJ_Lb0EEESK_SG_NS_23Merge_v2_magic_divisionINS5_IJiiiEEEEESN_NS_8RightPadIiiLb0EEESP_NS_7UnMergeISJ_Lb0EEESG_EEENS5_IJNS_8SequenceIJLi0EEEENST_IJLi1EEEENST_IJLi2EEEENST_IJLi3EEEENST_IJLi4EEEENST_IJLi5EEEENST_IJLi6EEEENST_IJLi7EEEENST_IJLi8EEEENST_IJLi9ELi11ELi13EEEENST_IJLi10ELi12ELi14EEEENST_IJLi15EEEENST_IJLi16EEEENST_IJLi18EEEENST_IJLi17EEEEEEENS5_IJNST_IJLi1ELi2ELi3ELi4EEEESZ_S10_S11_S12_NST_IJLi9EEEENST_IJLi10ELi11EEEENST_IJLi12ELi13EEEENST_IJLi14EEEES15_S16_S18_S17_NST_IJLi19ELi20EEEENST_IJLi21EEEEEEENST_IJLi19ELi21ELi20EEEElEENSB_INS5_IJSR_SP_SP_SR_SG_EEENS5_IJSU_SV_SW_SY_SX_EEENS5_IJNST_IJLi1ELi2EEEESX_SY_NST_IJLi5ELi6EEEES11_EEENST_IJLi5ELi7ELi6EEEElEENSB_INS5_IJSK_SP_SP_EEENS5_IJSU_SV_SW_EEENS5_IJS1M_SX_SY_EEENST_IJLi3ELi4EEEElEELi128ELi128ELi16ELi4ELi4ELi4ELi1ENST_IJLi8ELi2EEEES1W_NST_IJLi8ELi1ELi1ELi4EEEENST_IJLi2ELi1ELi128ELi1EEEENST_IJLi1ELi2ELi0ELi3EEEES1Z_NST_IJLi4ELi1ELi1ELi4EEEES1Z_NST_IJLi1ELi1ELi1ELi4EEEES1X_S1Y_S1Z_S1Z_S20_S1Z_S21_NST_IJLi0ELi1ELi2ELi3ELi4ELi5EEEELi5ELi4EEEaNS5_IJPKaEEEaS8_S8_S9_NSB_INS5_IJSE_SG_SI_SI_SG_SG_SK_SK_SG_SN_SN_SP_SP_SR_SG_SG_NSQ_INS5_IJiNS_17integral_constantIiLi128EEEEEELb0EEENSF_INS27_IiLi4EEEEEEEENS5_IJSU_SV_SW_SX_SY_SZ_S10_S11_S12_S13_S14_S15_S16_S17_S18_NST_IJLi19EEEES1G_NST_IJLi20EEEEEEENS5_IJS1A_SZ_S10_S11_S12_S1B_S1C_S1D_S1E_S15_S16_S18_S17_S1F_S1G_NST_IJLi22EEEENST_IJLi23ELi24EEEENST_IJLi25EEEEEEENST_IJLi22ELi23ELi24ELi25EEEElEENSB_INS5_IJSR_SP_SP_SR_SG_SG_S2A_S2C_EEENS5_IJSU_SV_SW_SY_SX_SZ_S11_S10_EEENS5_IJS1M_SX_SY_S1N_S11_S12_NST_IJLi9ELi10EEEENST_IJLi11EEEEEEENST_IJLi8ELi9ELi10ELi11EEEElEENS5_IJNSB_INS5_IJSK_SP_SP_NSQ_INS5_IJiNS27_IiLi2EEENS27_IiLi64EEEEEELb0EEES2X_EEENS5_IJSU_SV_SW_SX_SY_EEENS5_IJS1M_SX_SY_NST_IJLi5ELi6ELi7EEEENST_IJLi8ELi9ELi10EEEEEEENST_IJLi5ELi6ELi7ELi8ELi9ELi10EEEElEEEEES34_NS_31BlockToCTileMap_M00_N00_M01_N01ILi128ELi128ES1V_Lb0EEENS1_30ComputePtrOffsetOfStridedBatchILi1ELi1ELi1EvEELb1ELb1EEEvPKT0_S3C_T1_PT2_T3_T4_T5_iT6_T7_T8_T9_T10_T11_,comdat
	.globl	_ZN2ck16tensor_operation6device12_GLOBAL__N_137kernel_grouped_conv_fwd_dl_multiple_dINS_32GridwiseGemmDlMultipleD_km_kn_mnILi256EaiNS_5TupleIJaEEEaNS0_12element_wise11PassThroughES8_NS7_7AddReluELNS_25InMemoryDataOperationEnumE0ENS_16TensorDescriptorINS5_IJNS_5EmbedINS5_IJiiiiEEESD_Lb0EEENS_11PassThroughIiEENS_3PadIiiiLb0EEESI_SG_SG_NSC_INS5_IJiiEEESJ_Lb0EEESK_SG_NS_23Merge_v2_magic_divisionINS5_IJiiiEEEEESN_NS_8RightPadIiiLb0EEESP_NS_7UnMergeISJ_Lb0EEESG_EEENS5_IJNS_8SequenceIJLi0EEEENST_IJLi1EEEENST_IJLi2EEEENST_IJLi3EEEENST_IJLi4EEEENST_IJLi5EEEENST_IJLi6EEEENST_IJLi7EEEENST_IJLi8EEEENST_IJLi9ELi11ELi13EEEENST_IJLi10ELi12ELi14EEEENST_IJLi15EEEENST_IJLi16EEEENST_IJLi18EEEENST_IJLi17EEEEEEENS5_IJNST_IJLi1ELi2ELi3ELi4EEEESZ_S10_S11_S12_NST_IJLi9EEEENST_IJLi10ELi11EEEENST_IJLi12ELi13EEEENST_IJLi14EEEES15_S16_S18_S17_NST_IJLi19ELi20EEEENST_IJLi21EEEEEEENST_IJLi19ELi21ELi20EEEElEENSB_INS5_IJSR_SP_SP_SR_SG_EEENS5_IJSU_SV_SW_SY_SX_EEENS5_IJNST_IJLi1ELi2EEEESX_SY_NST_IJLi5ELi6EEEES11_EEENST_IJLi5ELi7ELi6EEEElEENSB_INS5_IJSK_SP_SP_EEENS5_IJSU_SV_SW_EEENS5_IJS1M_SX_SY_EEENST_IJLi3ELi4EEEElEELi128ELi128ELi16ELi4ELi4ELi4ELi1ENST_IJLi8ELi2EEEES1W_NST_IJLi8ELi1ELi1ELi4EEEENST_IJLi2ELi1ELi128ELi1EEEENST_IJLi1ELi2ELi0ELi3EEEES1Z_NST_IJLi4ELi1ELi1ELi4EEEES1Z_NST_IJLi1ELi1ELi1ELi4EEEES1X_S1Y_S1Z_S1Z_S20_S1Z_S21_NST_IJLi0ELi1ELi2ELi3ELi4ELi5EEEELi5ELi4EEEaNS5_IJPKaEEEaS8_S8_S9_NSB_INS5_IJSE_SG_SI_SI_SG_SG_SK_SK_SG_SN_SN_SP_SP_SR_SG_SG_NSQ_INS5_IJiNS_17integral_constantIiLi128EEEEEELb0EEENSF_INS27_IiLi4EEEEEEEENS5_IJSU_SV_SW_SX_SY_SZ_S10_S11_S12_S13_S14_S15_S16_S17_S18_NST_IJLi19EEEES1G_NST_IJLi20EEEEEEENS5_IJS1A_SZ_S10_S11_S12_S1B_S1C_S1D_S1E_S15_S16_S18_S17_S1F_S1G_NST_IJLi22EEEENST_IJLi23ELi24EEEENST_IJLi25EEEEEEENST_IJLi22ELi23ELi24ELi25EEEElEENSB_INS5_IJSR_SP_SP_SR_SG_SG_S2A_S2C_EEENS5_IJSU_SV_SW_SY_SX_SZ_S11_S10_EEENS5_IJS1M_SX_SY_S1N_S11_S12_NST_IJLi9ELi10EEEENST_IJLi11EEEEEEENST_IJLi8ELi9ELi10ELi11EEEElEENS5_IJNSB_INS5_IJSK_SP_SP_NSQ_INS5_IJiNS27_IiLi2EEENS27_IiLi64EEEEEELb0EEES2X_EEENS5_IJSU_SV_SW_SX_SY_EEENS5_IJS1M_SX_SY_NST_IJLi5ELi6ELi7EEEENST_IJLi8ELi9ELi10EEEEEEENST_IJLi5ELi6ELi7ELi8ELi9ELi10EEEElEEEEES34_NS_31BlockToCTileMap_M00_N00_M01_N01ILi128ELi128ES1V_Lb0EEENS1_30ComputePtrOffsetOfStridedBatchILi1ELi1ELi1EvEELb1ELb1EEEvPKT0_S3C_T1_PT2_T3_T4_T5_iT6_T7_T8_T9_T10_T11_ ; -- Begin function _ZN2ck16tensor_operation6device12_GLOBAL__N_137kernel_grouped_conv_fwd_dl_multiple_dINS_32GridwiseGemmDlMultipleD_km_kn_mnILi256EaiNS_5TupleIJaEEEaNS0_12element_wise11PassThroughES8_NS7_7AddReluELNS_25InMemoryDataOperationEnumE0ENS_16TensorDescriptorINS5_IJNS_5EmbedINS5_IJiiiiEEESD_Lb0EEENS_11PassThroughIiEENS_3PadIiiiLb0EEESI_SG_SG_NSC_INS5_IJiiEEESJ_Lb0EEESK_SG_NS_23Merge_v2_magic_divisionINS5_IJiiiEEEEESN_NS_8RightPadIiiLb0EEESP_NS_7UnMergeISJ_Lb0EEESG_EEENS5_IJNS_8SequenceIJLi0EEEENST_IJLi1EEEENST_IJLi2EEEENST_IJLi3EEEENST_IJLi4EEEENST_IJLi5EEEENST_IJLi6EEEENST_IJLi7EEEENST_IJLi8EEEENST_IJLi9ELi11ELi13EEEENST_IJLi10ELi12ELi14EEEENST_IJLi15EEEENST_IJLi16EEEENST_IJLi18EEEENST_IJLi17EEEEEEENS5_IJNST_IJLi1ELi2ELi3ELi4EEEESZ_S10_S11_S12_NST_IJLi9EEEENST_IJLi10ELi11EEEENST_IJLi12ELi13EEEENST_IJLi14EEEES15_S16_S18_S17_NST_IJLi19ELi20EEEENST_IJLi21EEEEEEENST_IJLi19ELi21ELi20EEEElEENSB_INS5_IJSR_SP_SP_SR_SG_EEENS5_IJSU_SV_SW_SY_SX_EEENS5_IJNST_IJLi1ELi2EEEESX_SY_NST_IJLi5ELi6EEEES11_EEENST_IJLi5ELi7ELi6EEEElEENSB_INS5_IJSK_SP_SP_EEENS5_IJSU_SV_SW_EEENS5_IJS1M_SX_SY_EEENST_IJLi3ELi4EEEElEELi128ELi128ELi16ELi4ELi4ELi4ELi1ENST_IJLi8ELi2EEEES1W_NST_IJLi8ELi1ELi1ELi4EEEENST_IJLi2ELi1ELi128ELi1EEEENST_IJLi1ELi2ELi0ELi3EEEES1Z_NST_IJLi4ELi1ELi1ELi4EEEES1Z_NST_IJLi1ELi1ELi1ELi4EEEES1X_S1Y_S1Z_S1Z_S20_S1Z_S21_NST_IJLi0ELi1ELi2ELi3ELi4ELi5EEEELi5ELi4EEEaNS5_IJPKaEEEaS8_S8_S9_NSB_INS5_IJSE_SG_SI_SI_SG_SG_SK_SK_SG_SN_SN_SP_SP_SR_SG_SG_NSQ_INS5_IJiNS_17integral_constantIiLi128EEEEEELb0EEENSF_INS27_IiLi4EEEEEEEENS5_IJSU_SV_SW_SX_SY_SZ_S10_S11_S12_S13_S14_S15_S16_S17_S18_NST_IJLi19EEEES1G_NST_IJLi20EEEEEEENS5_IJS1A_SZ_S10_S11_S12_S1B_S1C_S1D_S1E_S15_S16_S18_S17_S1F_S1G_NST_IJLi22EEEENST_IJLi23ELi24EEEENST_IJLi25EEEEEEENST_IJLi22ELi23ELi24ELi25EEEElEENSB_INS5_IJSR_SP_SP_SR_SG_SG_S2A_S2C_EEENS5_IJSU_SV_SW_SY_SX_SZ_S11_S10_EEENS5_IJS1M_SX_SY_S1N_S11_S12_NST_IJLi9ELi10EEEENST_IJLi11EEEEEEENST_IJLi8ELi9ELi10ELi11EEEElEENS5_IJNSB_INS5_IJSK_SP_SP_NSQ_INS5_IJiNS27_IiLi2EEENS27_IiLi64EEEEEELb0EEES2X_EEENS5_IJSU_SV_SW_SX_SY_EEENS5_IJS1M_SX_SY_NST_IJLi5ELi6ELi7EEEENST_IJLi8ELi9ELi10EEEEEEENST_IJLi5ELi6ELi7ELi8ELi9ELi10EEEElEEEEES34_NS_31BlockToCTileMap_M00_N00_M01_N01ILi128ELi128ES1V_Lb0EEENS1_30ComputePtrOffsetOfStridedBatchILi1ELi1ELi1EvEELb1ELb1EEEvPKT0_S3C_T1_PT2_T3_T4_T5_iT6_T7_T8_T9_T10_T11_
	.p2align	8
	.type	_ZN2ck16tensor_operation6device12_GLOBAL__N_137kernel_grouped_conv_fwd_dl_multiple_dINS_32GridwiseGemmDlMultipleD_km_kn_mnILi256EaiNS_5TupleIJaEEEaNS0_12element_wise11PassThroughES8_NS7_7AddReluELNS_25InMemoryDataOperationEnumE0ENS_16TensorDescriptorINS5_IJNS_5EmbedINS5_IJiiiiEEESD_Lb0EEENS_11PassThroughIiEENS_3PadIiiiLb0EEESI_SG_SG_NSC_INS5_IJiiEEESJ_Lb0EEESK_SG_NS_23Merge_v2_magic_divisionINS5_IJiiiEEEEESN_NS_8RightPadIiiLb0EEESP_NS_7UnMergeISJ_Lb0EEESG_EEENS5_IJNS_8SequenceIJLi0EEEENST_IJLi1EEEENST_IJLi2EEEENST_IJLi3EEEENST_IJLi4EEEENST_IJLi5EEEENST_IJLi6EEEENST_IJLi7EEEENST_IJLi8EEEENST_IJLi9ELi11ELi13EEEENST_IJLi10ELi12ELi14EEEENST_IJLi15EEEENST_IJLi16EEEENST_IJLi18EEEENST_IJLi17EEEEEEENS5_IJNST_IJLi1ELi2ELi3ELi4EEEESZ_S10_S11_S12_NST_IJLi9EEEENST_IJLi10ELi11EEEENST_IJLi12ELi13EEEENST_IJLi14EEEES15_S16_S18_S17_NST_IJLi19ELi20EEEENST_IJLi21EEEEEEENST_IJLi19ELi21ELi20EEEElEENSB_INS5_IJSR_SP_SP_SR_SG_EEENS5_IJSU_SV_SW_SY_SX_EEENS5_IJNST_IJLi1ELi2EEEESX_SY_NST_IJLi5ELi6EEEES11_EEENST_IJLi5ELi7ELi6EEEElEENSB_INS5_IJSK_SP_SP_EEENS5_IJSU_SV_SW_EEENS5_IJS1M_SX_SY_EEENST_IJLi3ELi4EEEElEELi128ELi128ELi16ELi4ELi4ELi4ELi1ENST_IJLi8ELi2EEEES1W_NST_IJLi8ELi1ELi1ELi4EEEENST_IJLi2ELi1ELi128ELi1EEEENST_IJLi1ELi2ELi0ELi3EEEES1Z_NST_IJLi4ELi1ELi1ELi4EEEES1Z_NST_IJLi1ELi1ELi1ELi4EEEES1X_S1Y_S1Z_S1Z_S20_S1Z_S21_NST_IJLi0ELi1ELi2ELi3ELi4ELi5EEEELi5ELi4EEEaNS5_IJPKaEEEaS8_S8_S9_NSB_INS5_IJSE_SG_SI_SI_SG_SG_SK_SK_SG_SN_SN_SP_SP_SR_SG_SG_NSQ_INS5_IJiNS_17integral_constantIiLi128EEEEEELb0EEENSF_INS27_IiLi4EEEEEEEENS5_IJSU_SV_SW_SX_SY_SZ_S10_S11_S12_S13_S14_S15_S16_S17_S18_NST_IJLi19EEEES1G_NST_IJLi20EEEEEEENS5_IJS1A_SZ_S10_S11_S12_S1B_S1C_S1D_S1E_S15_S16_S18_S17_S1F_S1G_NST_IJLi22EEEENST_IJLi23ELi24EEEENST_IJLi25EEEEEEENST_IJLi22ELi23ELi24ELi25EEEElEENSB_INS5_IJSR_SP_SP_SR_SG_SG_S2A_S2C_EEENS5_IJSU_SV_SW_SY_SX_SZ_S11_S10_EEENS5_IJS1M_SX_SY_S1N_S11_S12_NST_IJLi9ELi10EEEENST_IJLi11EEEEEEENST_IJLi8ELi9ELi10ELi11EEEElEENS5_IJNSB_INS5_IJSK_SP_SP_NSQ_INS5_IJiNS27_IiLi2EEENS27_IiLi64EEEEEELb0EEES2X_EEENS5_IJSU_SV_SW_SX_SY_EEENS5_IJS1M_SX_SY_NST_IJLi5ELi6ELi7EEEENST_IJLi8ELi9ELi10EEEEEEENST_IJLi5ELi6ELi7ELi8ELi9ELi10EEEElEEEEES34_NS_31BlockToCTileMap_M00_N00_M01_N01ILi128ELi128ES1V_Lb0EEENS1_30ComputePtrOffsetOfStridedBatchILi1ELi1ELi1EvEELb1ELb1EEEvPKT0_S3C_T1_PT2_T3_T4_T5_iT6_T7_T8_T9_T10_T11_,@function
_ZN2ck16tensor_operation6device12_GLOBAL__N_137kernel_grouped_conv_fwd_dl_multiple_dINS_32GridwiseGemmDlMultipleD_km_kn_mnILi256EaiNS_5TupleIJaEEEaNS0_12element_wise11PassThroughES8_NS7_7AddReluELNS_25InMemoryDataOperationEnumE0ENS_16TensorDescriptorINS5_IJNS_5EmbedINS5_IJiiiiEEESD_Lb0EEENS_11PassThroughIiEENS_3PadIiiiLb0EEESI_SG_SG_NSC_INS5_IJiiEEESJ_Lb0EEESK_SG_NS_23Merge_v2_magic_divisionINS5_IJiiiEEEEESN_NS_8RightPadIiiLb0EEESP_NS_7UnMergeISJ_Lb0EEESG_EEENS5_IJNS_8SequenceIJLi0EEEENST_IJLi1EEEENST_IJLi2EEEENST_IJLi3EEEENST_IJLi4EEEENST_IJLi5EEEENST_IJLi6EEEENST_IJLi7EEEENST_IJLi8EEEENST_IJLi9ELi11ELi13EEEENST_IJLi10ELi12ELi14EEEENST_IJLi15EEEENST_IJLi16EEEENST_IJLi18EEEENST_IJLi17EEEEEEENS5_IJNST_IJLi1ELi2ELi3ELi4EEEESZ_S10_S11_S12_NST_IJLi9EEEENST_IJLi10ELi11EEEENST_IJLi12ELi13EEEENST_IJLi14EEEES15_S16_S18_S17_NST_IJLi19ELi20EEEENST_IJLi21EEEEEEENST_IJLi19ELi21ELi20EEEElEENSB_INS5_IJSR_SP_SP_SR_SG_EEENS5_IJSU_SV_SW_SY_SX_EEENS5_IJNST_IJLi1ELi2EEEESX_SY_NST_IJLi5ELi6EEEES11_EEENST_IJLi5ELi7ELi6EEEElEENSB_INS5_IJSK_SP_SP_EEENS5_IJSU_SV_SW_EEENS5_IJS1M_SX_SY_EEENST_IJLi3ELi4EEEElEELi128ELi128ELi16ELi4ELi4ELi4ELi1ENST_IJLi8ELi2EEEES1W_NST_IJLi8ELi1ELi1ELi4EEEENST_IJLi2ELi1ELi128ELi1EEEENST_IJLi1ELi2ELi0ELi3EEEES1Z_NST_IJLi4ELi1ELi1ELi4EEEES1Z_NST_IJLi1ELi1ELi1ELi4EEEES1X_S1Y_S1Z_S1Z_S20_S1Z_S21_NST_IJLi0ELi1ELi2ELi3ELi4ELi5EEEELi5ELi4EEEaNS5_IJPKaEEEaS8_S8_S9_NSB_INS5_IJSE_SG_SI_SI_SG_SG_SK_SK_SG_SN_SN_SP_SP_SR_SG_SG_NSQ_INS5_IJiNS_17integral_constantIiLi128EEEEEELb0EEENSF_INS27_IiLi4EEEEEEEENS5_IJSU_SV_SW_SX_SY_SZ_S10_S11_S12_S13_S14_S15_S16_S17_S18_NST_IJLi19EEEES1G_NST_IJLi20EEEEEEENS5_IJS1A_SZ_S10_S11_S12_S1B_S1C_S1D_S1E_S15_S16_S18_S17_S1F_S1G_NST_IJLi22EEEENST_IJLi23ELi24EEEENST_IJLi25EEEEEEENST_IJLi22ELi23ELi24ELi25EEEElEENSB_INS5_IJSR_SP_SP_SR_SG_SG_S2A_S2C_EEENS5_IJSU_SV_SW_SY_SX_SZ_S11_S10_EEENS5_IJS1M_SX_SY_S1N_S11_S12_NST_IJLi9ELi10EEEENST_IJLi11EEEEEEENST_IJLi8ELi9ELi10ELi11EEEElEENS5_IJNSB_INS5_IJSK_SP_SP_NSQ_INS5_IJiNS27_IiLi2EEENS27_IiLi64EEEEEELb0EEES2X_EEENS5_IJSU_SV_SW_SX_SY_EEENS5_IJS1M_SX_SY_NST_IJLi5ELi6ELi7EEEENST_IJLi8ELi9ELi10EEEEEEENST_IJLi5ELi6ELi7ELi8ELi9ELi10EEEElEEEEES34_NS_31BlockToCTileMap_M00_N00_M01_N01ILi128ELi128ES1V_Lb0EEENS1_30ComputePtrOffsetOfStridedBatchILi1ELi1ELi1EvEELb1ELb1EEEvPKT0_S3C_T1_PT2_T3_T4_T5_iT6_T7_T8_T9_T10_T11_: ; @_ZN2ck16tensor_operation6device12_GLOBAL__N_137kernel_grouped_conv_fwd_dl_multiple_dINS_32GridwiseGemmDlMultipleD_km_kn_mnILi256EaiNS_5TupleIJaEEEaNS0_12element_wise11PassThroughES8_NS7_7AddReluELNS_25InMemoryDataOperationEnumE0ENS_16TensorDescriptorINS5_IJNS_5EmbedINS5_IJiiiiEEESD_Lb0EEENS_11PassThroughIiEENS_3PadIiiiLb0EEESI_SG_SG_NSC_INS5_IJiiEEESJ_Lb0EEESK_SG_NS_23Merge_v2_magic_divisionINS5_IJiiiEEEEESN_NS_8RightPadIiiLb0EEESP_NS_7UnMergeISJ_Lb0EEESG_EEENS5_IJNS_8SequenceIJLi0EEEENST_IJLi1EEEENST_IJLi2EEEENST_IJLi3EEEENST_IJLi4EEEENST_IJLi5EEEENST_IJLi6EEEENST_IJLi7EEEENST_IJLi8EEEENST_IJLi9ELi11ELi13EEEENST_IJLi10ELi12ELi14EEEENST_IJLi15EEEENST_IJLi16EEEENST_IJLi18EEEENST_IJLi17EEEEEEENS5_IJNST_IJLi1ELi2ELi3ELi4EEEESZ_S10_S11_S12_NST_IJLi9EEEENST_IJLi10ELi11EEEENST_IJLi12ELi13EEEENST_IJLi14EEEES15_S16_S18_S17_NST_IJLi19ELi20EEEENST_IJLi21EEEEEEENST_IJLi19ELi21ELi20EEEElEENSB_INS5_IJSR_SP_SP_SR_SG_EEENS5_IJSU_SV_SW_SY_SX_EEENS5_IJNST_IJLi1ELi2EEEESX_SY_NST_IJLi5ELi6EEEES11_EEENST_IJLi5ELi7ELi6EEEElEENSB_INS5_IJSK_SP_SP_EEENS5_IJSU_SV_SW_EEENS5_IJS1M_SX_SY_EEENST_IJLi3ELi4EEEElEELi128ELi128ELi16ELi4ELi4ELi4ELi1ENST_IJLi8ELi2EEEES1W_NST_IJLi8ELi1ELi1ELi4EEEENST_IJLi2ELi1ELi128ELi1EEEENST_IJLi1ELi2ELi0ELi3EEEES1Z_NST_IJLi4ELi1ELi1ELi4EEEES1Z_NST_IJLi1ELi1ELi1ELi4EEEES1X_S1Y_S1Z_S1Z_S20_S1Z_S21_NST_IJLi0ELi1ELi2ELi3ELi4ELi5EEEELi5ELi4EEEaNS5_IJPKaEEEaS8_S8_S9_NSB_INS5_IJSE_SG_SI_SI_SG_SG_SK_SK_SG_SN_SN_SP_SP_SR_SG_SG_NSQ_INS5_IJiNS_17integral_constantIiLi128EEEEEELb0EEENSF_INS27_IiLi4EEEEEEEENS5_IJSU_SV_SW_SX_SY_SZ_S10_S11_S12_S13_S14_S15_S16_S17_S18_NST_IJLi19EEEES1G_NST_IJLi20EEEEEEENS5_IJS1A_SZ_S10_S11_S12_S1B_S1C_S1D_S1E_S15_S16_S18_S17_S1F_S1G_NST_IJLi22EEEENST_IJLi23ELi24EEEENST_IJLi25EEEEEEENST_IJLi22ELi23ELi24ELi25EEEElEENSB_INS5_IJSR_SP_SP_SR_SG_SG_S2A_S2C_EEENS5_IJSU_SV_SW_SY_SX_SZ_S11_S10_EEENS5_IJS1M_SX_SY_S1N_S11_S12_NST_IJLi9ELi10EEEENST_IJLi11EEEEEEENST_IJLi8ELi9ELi10ELi11EEEElEENS5_IJNSB_INS5_IJSK_SP_SP_NSQ_INS5_IJiNS27_IiLi2EEENS27_IiLi64EEEEEELb0EEES2X_EEENS5_IJSU_SV_SW_SX_SY_EEENS5_IJS1M_SX_SY_NST_IJLi5ELi6ELi7EEEENST_IJLi8ELi9ELi10EEEEEEENST_IJLi5ELi6ELi7ELi8ELi9ELi10EEEElEEEEES34_NS_31BlockToCTileMap_M00_N00_M01_N01ILi128ELi128ES1V_Lb0EEENS1_30ComputePtrOffsetOfStridedBatchILi1ELi1ELi1EvEELb1ELb1EEEvPKT0_S3C_T1_PT2_T3_T4_T5_iT6_T7_T8_T9_T10_T11_
; %bb.0:
	s_add_u32 flat_scratch_lo, s6, s9
	s_addc_u32 flat_scratch_hi, s7, 0
	s_add_u32 s0, s0, s9
	s_addc_u32 s1, s1, 0
	s_mov_b64 s[6:7], s[4:5]
	s_load_dwordx4 s[12:15], s[4:5], 0x0
	s_load_dwordx2 s[66:67], s[4:5], 0x18
	s_load_dword s11, s[4:5], 0x24
	s_load_dwordx4 s[40:43], s[4:5], 0x38
	s_load_dwordx4 s[28:31], s[4:5], 0x4c
	s_load_dwordx2 s[60:61], s[4:5], 0x5c
	s_load_dwordx4 s[44:47], s[4:5], 0x74
	s_load_dwordx2 s[62:63], s[4:5], 0x84
	s_nop 0
	s_load_dwordx2 s[4:5], s[4:5], 0xac
	s_nop 0
	s_load_dwordx2 s[64:65], s[6:7], 0xbc
	s_waitcnt lgkmcnt(0)
	s_abs_i32 s16, s11
	v_cvt_f32_u32_e32 v1, s16
	s_load_dwordx2 s[70:71], s[6:7], 0xc8
	s_load_dwordx2 s[68:69], s[6:7], 0xd4
	s_load_dword s9, s[6:7], 0xe4
	s_load_dword s78, s[6:7], 0xf0
	;; [unrolled: 1-line block ×3, first 2 shown]
	s_sub_i32 s18, 0, s16
	s_load_dword s34, s[6:7], 0x100
	s_load_dword s35, s[6:7], 0x10c
	;; [unrolled: 1-line block ×8, first 2 shown]
	v_rcp_iflag_f32_e32 v1, v1
	s_load_dword s46, s[6:7], 0x244
	s_load_dword s47, s[6:7], 0x254
	s_load_dwordx4 s[24:27], s[6:7], 0x260
	s_waitcnt lgkmcnt(0)
	s_xor_b32 s11, s17, s11
	s_abs_i32 s17, s17
	v_mul_f32_e32 v1, 0x4f7ffffe, v1
	v_cvt_u32_f32_e32 v1, v1
	s_ashr_i32 s11, s11, 31
	v_lshrrev_b32_e32 v4, 5, v0
	v_lshlrev_b32_e32 v7, 1, v0
	v_readfirstlane_b32 s19, v1
	s_mul_i32 s18, s18, s19
	s_mul_hi_u32 s18, s19, s18
	s_add_i32 s19, s19, s18
	s_mul_hi_u32 s18, s17, s19
	s_mul_i32 s19, s18, s16
	s_sub_i32 s17, s17, s19
	s_add_i32 s19, s18, 1
	s_sub_i32 s20, s17, s16
	s_cmp_ge_u32 s17, s16
	s_cselect_b32 s18, s19, s18
	s_cselect_b32 s17, s20, s17
	s_add_i32 s19, s18, 1
	s_cmp_ge_u32 s17, s16
	s_cselect_b32 s16, s19, s18
	s_xor_b32 s16, s16, s11
	s_sub_i32 s11, s16, s11
	s_abs_i32 s33, s11
	v_cvt_f32_u32_e32 v1, s33
	s_sub_i32 s49, 0, s33
	s_abs_i32 s48, s8
	s_xor_b32 s11, s8, s11
	v_rcp_iflag_f32_e32 v1, v1
	s_ashr_i32 s11, s11, 31
	s_load_dwordx4 s[56:59], s[6:7], 0x274
	s_load_dwordx4 s[36:39], s[6:7], 0x288
	s_load_dwordx8 s[16:23], s[6:7], 0x2a0
	v_lshlrev_b32_e32 v6, 6, v4
	v_mul_f32_e32 v1, 0x4f7ffffe, v1
	v_cvt_u32_f32_e32 v1, v1
	v_and_b32_e32 v8, 0x1f8, v7
	v_lshrrev_b32_e32 v20, 1, v0
	v_sub_u32_e32 v6, v8, v6
	v_readfirstlane_b32 s51, v1
	s_mul_i32 s49, s49, s51
	s_mul_hi_u32 s49, s51, s49
	s_add_i32 s51, s51, s49
	s_mul_hi_u32 s49, s48, s51
	s_mul_i32 s51, s49, s33
	s_sub_i32 s48, s48, s51
	s_add_i32 s51, s49, 1
	s_sub_i32 s52, s48, s33
	s_cmp_ge_u32 s48, s33
	s_cselect_b32 s49, s51, s49
	s_cselect_b32 s48, s52, s48
	s_add_i32 s51, s49, 1
	s_cmp_ge_u32 s48, s33
	s_cselect_b32 s33, s51, s49
	s_xor_b32 s33, s33, s11
	s_sub_i32 s84, s33, s11
	s_ashr_i32 s85, s84, 31
	s_waitcnt lgkmcnt(0)
	s_mul_i32 s11, s16, s85
	s_mul_hi_u32 s33, s16, s84
	s_add_i32 s11, s33, s11
	s_mul_i32 s17, s17, s84
	s_add_i32 s11, s11, s17
	s_mul_i32 s17, s18, s85
	s_mul_hi_u32 s33, s18, s84
	s_add_i32 s17, s33, s17
	s_mul_i32 s19, s19, s84
	s_add_i32 s17, s17, s19
	s_mul_i32 s19, s18, s84
	s_mul_i32 s18, s22, s85
	s_mul_hi_u32 s33, s22, s84
	s_add_i32 s18, s33, s18
	s_mul_i32 s23, s23, s84
	s_mul_i32 s16, s16, s84
	s_add_i32 s18, s18, s23
	s_add_u32 s48, s12, s16
	s_addc_u32 s49, s13, s11
	s_add_u32 s52, s14, s19
	s_mul_hi_u32 s11, s59, s8
	s_addc_u32 s53, s15, s17
	s_add_i32 s11, s8, s11
	s_lshr_b32 s11, s11, s39
	s_mul_i32 s12, s11, s27
	s_sub_i32 s59, s8, s12
	s_mul_hi_u32 s8, s11, s58
	s_add_i32 s8, s11, s8
	s_lshr_b32 s8, s8, s38
	s_mul_i32 s12, s8, s26
	s_sub_i32 s58, s11, s12
	s_mul_hi_u32 s11, s8, s57
	s_add_i32 s11, s8, s11
	s_lshr_b32 s11, s11, s37
	s_mul_i32 s12, s11, s25
	v_lshlrev_b32_e32 v1, 3, v0
	v_lshlrev_b32_e32 v0, 2, v0
	s_sub_i32 s8, s8, s12
	s_mul_hi_u32 s12, s11, s56
	v_and_or_b32 v37, v0, 4, v6
	v_and_b32_e32 v0, 0x1fc, v7
	s_add_i32 s12, s11, s12
	v_sub_u32_e32 v0, v0, v8
	s_lshr_b32 s12, s12, s36
	v_lshl_add_u32 v39, v4, 3, v0
	s_mul_i32 s12, s12, s24
	v_and_b32_e32 v21, 8, v1
	v_mov_b32_e32 v42, 0
	v_lshlrev_b32_e32 v0, 2, v39
	s_sub_i32 s11, s11, s12
	v_mul_lo_u32 v22, s34, v21
	buffer_store_dword v42, off, s[0:3], 0 offset:64
	buffer_store_dword v39, off, s[0:3], 0 offset:68
	;; [unrolled: 1-line block ×12, first 2 shown]
	v_lshlrev_b32_e32 v0, 2, v37
	s_mov_b64 s[12:13], src_shared_base
	v_mul_hi_u32 v1, v22, s71
	buffer_store_dword v0, off, s[0:3], 0 offset:112
	buffer_store_dword v42, off, s[0:3], 0 offset:116
	;; [unrolled: 1-line block ×72, first 2 shown]
	v_mov_b32_e32 v0, s13
	v_mov_b32_e32 v4, 0x4000
	v_add_u32_e32 v1, v22, v1
	buffer_store_dword v0, off, s[0:3], 0 offset:404
	buffer_store_dword v42, off, s[0:3], 0 offset:400
	buffer_store_byte v42, off, s[0:3], 0 offset:409
	buffer_store_dword v0, off, s[0:3], 0 offset:420
	buffer_store_dword v4, off, s[0:3], 0 offset:416
	buffer_store_byte v42, off, s[0:3], 0 offset:425
	buffer_store_dword v0, off, s[0:3], 0 offset:436
	v_mov_b32_e32 v4, 0x2000
	s_lshl_b32 s88, s34, 2
	v_lshrrev_b32_e32 v1, s69, v1
	buffer_store_dword v4, off, s[0:3], 0 offset:432
	buffer_store_byte v42, off, s[0:3], 0 offset:441
	buffer_store_dword v0, off, s[0:3], 0 offset:452
	v_mov_b32_e32 v0, 0x6000
	v_add_u32_e32 v41, s88, v22
	v_mul_lo_u32 v2, v1, s65
	buffer_store_dword v0, off, s[0:3], 0 offset:448
	buffer_store_byte v42, off, s[0:3], 0 offset:457
	v_mul_hi_u32 v0, v41, s71
	v_sub_u32_e32 v5, v22, v2
	v_mul_hi_u32 v2, v1, s70
	v_add_u32_e32 v0, v41, v0
	s_load_dwordx2 s[12:13], s[6:7], 0xa0
	s_load_dwordx2 s[14:15], s[6:7], 0x94
	s_mul_i32 s11, s11, s46
	v_add_u32_e32 v3, v1, v2
	v_lshrrev_b32_e32 v6, s69, v0
	s_add_i32 s58, s58, s11
	v_mul_lo_u32 v0, v6, s65
	v_lshrrev_b32_e32 v7, s68, v3
	v_sub_u32_e32 v44, v41, v0
	v_lshl_or_b32 v23, s58, 7, v20
	v_mul_lo_u32 v0, v7, s64
	v_sub_u32_e32 v8, v1, v0
	s_waitcnt lgkmcnt(0)
	v_mul_hi_u32 v0, v23, s13
	v_add_u32_e32 v0, v23, v0
	v_lshrrev_b32_e32 v0, s5, v0
	v_mul_hi_u32 v1, v0, s12
	v_add_u32_e32 v1, v0, v1
	v_lshrrev_b32_e32 v1, s4, v1
	v_mul_lo_u32 v3, v1, s14
	v_mul_lo_u32 v4, v0, s15
	v_sub_u32_e32 v3, v0, v3
	v_sub_u32_e32 v9, v23, v4
	v_mul_lo_u32 v4, v7, s44
	v_mul_lo_u32 v0, v8, s62
	v_mad_u64_u32 v[16:17], s[4:5], v3, s45, v[4:5]
	v_mad_u64_u32 v[18:19], s[4:5], v9, s63, v[0:1]
	v_subrev_u32_e32 v3, s29, v16
	v_mul_lo_u32 v2, v5, s43
	v_subrev_u32_e32 v0, s60, v18
	v_mul_lo_u32 v3, v3, s41
	v_mul_lo_u32 v4, v1, s40
	v_mad_u64_u32 v[0:1], s[4:5], v0, s42, v[2:3]
	v_add3_u32 v9, v0, v4, v3
	v_sub_u32_e32 v4, v44, v5
	v_mul_hi_u32 v5, v6, s70
	v_add_u32_e32 v5, v6, v5
	v_lshrrev_b32_e32 v61, s68, v5
	s_mov_b32 s51, 0x20000
	v_mul_lo_u32 v5, v61, s64
	buffer_load_dwordx4 v[0:3], v9, s[48:51], 0 offen
	v_sub_u32_e32 v62, v6, v5
	v_sub_u32_e32 v5, v61, v7
	;; [unrolled: 1-line block ×3, first 2 shown]
	s_mul_i32 s8, s8, s47
	v_mul_lo_u32 v17, v6, s62
	v_mul_lo_u32 v19, v5, s44
	;; [unrolled: 1-line block ×4, first 2 shown]
	v_mad_u64_u32 v[4:5], s[4:5], v19, s41, v[4:5]
	s_add_i32 s59, s59, s8
	v_add3_u32 v38, v4, v6, v9
	buffer_load_dwordx4 v[4:7], v38, s[48:51], 0 offen
	v_lshl_or_b32 v24, s59, 7, v20
	v_mul_lo_u32 v25, s86, v21
	v_mul_lo_u32 v43, v24, s10
	v_add_u32_e32 v12, v43, v25
	s_mov_b32 s55, s51
	buffer_load_dwordx4 v[8:11], v12, s[52:55], 0 offen
	s_lshl_b32 s19, s86, 2
	v_add_u32_e32 v12, s19, v12
	buffer_load_dwordx4 v[12:15], v12, s[52:55], 0 offen
	s_load_dword s33, s[6:7], 0x1f4
	s_load_dword s4, s[6:7], 0x200
                                        ; implicit-def: $vgpr89 : SGPR spill to VGPR lane
	s_sub_i32 s61, s31, s61
	v_cmp_gt_i32_e64 s[10:11], s61, v18
	s_mov_b32 s40, s71
	v_cmp_gt_i32_e32 vcc, s78, v22
	s_waitcnt lgkmcnt(0)
	v_writelane_b32 v89, s4, 0
	v_cmp_le_i32_e64 s[4:5], s60, v18
	s_sub_i32 s71, s28, s30
	s_and_b64 s[4:5], s[4:5], s[10:11]
	s_and_b64 s[10:11], vcc, s[4:5]
	v_cmp_le_i32_e32 vcc, s29, v16
	v_cmp_gt_i32_e64 s[4:5], s71, v16
	s_and_b64 s[4:5], vcc, s[4:5]
	v_cmp_gt_i32_e64 s[8:9], s9, v23
	s_and_b64 s[4:5], s[10:11], s[4:5]
	v_add_u32_e32 v35, v18, v17
	s_and_b64 vcc, s[8:9], s[4:5]
	v_cmp_le_i32_e64 s[4:5], s60, v35
	v_cmp_gt_i32_e64 s[10:11], s61, v35
	v_add_u32_e32 v36, v16, v19
	s_and_b64 s[4:5], s[4:5], s[10:11]
	v_lshlrev_b32_e32 v20, 2, v20
	s_mov_b32 s92, 0x3020104
	v_lshl_or_b32 v34, v21, 9, v20
	v_add_u32_e32 v40, s19, v25
	s_mul_i32 s25, s22, s84
	s_sub_i32 s97, s35, 32
	s_mul_i32 s90, s34, 12
	s_lshl_b32 s99, s34, 5
	s_mov_b64 s[46:47], src_private_base
	s_mov_b32 s24, s41
	s_mov_b32 s36, s42
	s_mov_b32 s89, 0
	s_mov_b32 s75, 64
	s_movk_i32 s63, 0x90
	s_mov_b32 s72, s47
	s_movk_i32 s82, 0x190
	s_mov_b32 s83, s47
	s_movk_i32 s81, 0x1a0
	s_mov_b32 s80, s47
	s_movk_i32 s76, 0x1b0
	s_mov_b32 s77, s47
	s_movk_i32 s73, 0x1c0
	s_mov_b32 s74, s47
	s_mov_b32 s37, s44
	s_mov_b32 s91, s62
	;; [unrolled: 1-line block ×6, first 2 shown]
	s_lshl_b32 s98, s86, 5
	s_sub_i32 s45, 0, s65
	v_mov_b32_e32 v57, v41
	s_mov_b32 s46, 0
	s_movk_i32 s32, 0x7800
	s_waitcnt vmcnt(3)
	v_cndmask_b32_e32 v3, 0, v3, vcc
	v_cndmask_b32_e32 v2, 0, v2, vcc
	;; [unrolled: 1-line block ×4, first 2 shown]
	v_cmp_gt_i32_e32 vcc, s78, v41
	s_and_b64 s[10:11], vcc, s[4:5]
	v_cmp_le_i32_e32 vcc, s29, v36
	v_cmp_gt_i32_e64 s[4:5], s71, v36
	s_and_b64 s[4:5], vcc, s[4:5]
	s_and_b64 s[4:5], s[10:11], s[4:5]
	s_and_b64 vcc, s[8:9], s[4:5]
	v_perm_b32 v0, v0, v0, s92
	v_cmp_gt_i32_e64 s[10:11], s87, v24
	s_waitcnt vmcnt(2)
	v_cndmask_b32_e32 v7, 0, v7, vcc
	v_cndmask_b32_e32 v6, 0, v6, vcc
	;; [unrolled: 1-line block ×4, first 2 shown]
	v_cmp_gt_i32_e32 vcc, s79, v25
	ds_write2st64_b32 v34, v0, v1 offset1:2
	v_perm_b32 v0, v2, v2, s92
	s_and_b64 vcc, vcc, s[10:11]
	ds_write2st64_b32 v34, v0, v3 offset0:4 offset1:6
	v_perm_b32 v0, v4, v4, s92
	s_waitcnt vmcnt(1)
	v_cndmask_b32_e32 v11, 0, v11, vcc
	v_cndmask_b32_e32 v10, 0, v10, vcc
	;; [unrolled: 1-line block ×4, first 2 shown]
	v_cmp_gt_i32_e32 vcc, s79, v40
	ds_write2st64_b32 v34, v0, v5 offset0:8 offset1:10
	v_perm_b32 v0, v6, v6, s92
	s_and_b64 vcc, vcc, s[10:11]
	ds_write2st64_b32 v34, v0, v7 offset0:12 offset1:14
	v_perm_b32 v0, v8, v8, s92
	s_waitcnt vmcnt(0)
	v_cndmask_b32_e32 v12, 0, v12, vcc
	ds_write2st64_b32 v34, v0, v9 offset0:64 offset1:66
	v_perm_b32 v0, v10, v10, s92
	v_cndmask_b32_e32 v14, 0, v14, vcc
	v_cndmask_b32_e32 v13, 0, v13, vcc
	ds_write2st64_b32 v34, v0, v11 offset0:68 offset1:70
	v_perm_b32 v0, v12, v12, s92
	v_cndmask_b32_e32 v15, 0, v15, vcc
	ds_write2st64_b32 v34, v0, v13 offset0:72 offset1:74
	v_perm_b32 v0, v14, v14, s92
	ds_write2st64_b32 v34, v0, v15 offset0:76 offset1:78
	v_or_b32_e32 v0, 36, v21
	v_or_b32_e32 v1, 32, v21
	v_or_b32_e32 v2, 20, v21
	v_or_b32_e32 v3, 16, v21
	v_mul_lo_u32 v49, s34, v3
	v_mul_lo_u32 v50, s34, v2
	;; [unrolled: 1-line block ×4, first 2 shown]
	s_load_dword s28, s[6:7], 0x1a4
	s_load_dword s4, s[6:7], 0x1b0
	s_load_dwordx2 s[34:35], s[6:7], 0x198
	s_load_dwordx2 s[22:23], s[6:7], 0x1e8
	;; [unrolled: 1-line block ×4, first 2 shown]
	v_mul_lo_u32 v45, s86, v0
	v_mul_lo_u32 v46, s86, v1
	v_mul_lo_u32 v47, s86, v2
	v_mul_lo_u32 v48, s86, v3
	v_mov_b32_e32 v53, v52
	v_mov_b32_e32 v54, v51
	;; [unrolled: 1-line block ×4, first 2 shown]
	s_mov_b32 s87, 0
	s_waitcnt lgkmcnt(0)
	v_writelane_b32 v89, s4, 1
	s_getpc_b64 s[56:57]
	s_add_u32 s56, s56, _ZNK2ck6detail15static_for_implINS_8SequenceIJLi1ELi2ELi3ELi4ELi5ELi6ELi7ELi8ELi9ELi10ELi11ELi12ELi13ELi14ELi15EEEEEclIZNKS_80BlockwiseGemmDl_A_BK0_BM_BK1_B_BK0_BN_BK1_C_BM0_BM1_BN0_BN1_pipeline_BM0_2_BN0_2ILi256EaaiKNS_16TensorDescriptorINS_5TupleIJNS_5EmbedINS8_IJNS_17integral_constantIiLi16EEENSA_IiLi128EEENSA_IiLi4EEEEEENS8_IJNSA_IiLi512EEESD_NSA_IiLi1EEEEEELb0EEEEEENS8_IJNS2_IJLi0EEEEEEENS8_IJNS2_IJLi1ELi2ELi3EEEEEEESM_NSA_IlLl8192EEEEESQ_Li4ELi4ELi1ENS2_IJLi8ELi2EEEESR_Li4ELi4ELb0EE3RunINS7_INS8_IJNS_7UnMergeINS8_IJNSA_IiLi2EEESD_SV_SD_EEELb0EEEEEESL_NS8_IJNS2_IJLi1ELi2ELi3ELi4EEEEEEESZ_NSA_IlLl64EEEEENS_13DynamicBufferILNS_16AddressSpaceEnumE2EaSO_Lb1ELNS_22AmdBufferCoherenceEnumE0EiEES16_NS_12StaticBufferILS14_4EiLi64ELb1EEEEEvRKT_RKT0_RKT1_RT2_EUlS19_E_EEvS19_@rel32@lo+4
	s_addc_u32 s57, s57, _ZNK2ck6detail15static_for_implINS_8SequenceIJLi1ELi2ELi3ELi4ELi5ELi6ELi7ELi8ELi9ELi10ELi11ELi12ELi13ELi14ELi15EEEEEclIZNKS_80BlockwiseGemmDl_A_BK0_BM_BK1_B_BK0_BN_BK1_C_BM0_BM1_BN0_BN1_pipeline_BM0_2_BN0_2ILi256EaaiKNS_16TensorDescriptorINS_5TupleIJNS_5EmbedINS8_IJNS_17integral_constantIiLi16EEENSA_IiLi128EEENSA_IiLi4EEEEEENS8_IJNSA_IiLi512EEESD_NSA_IiLi1EEEEEELb0EEEEEENS8_IJNS2_IJLi0EEEEEEENS8_IJNS2_IJLi1ELi2ELi3EEEEEEESM_NSA_IlLl8192EEEEESQ_Li4ELi4ELi1ENS2_IJLi8ELi2EEEESR_Li4ELi4ELb0EE3RunINS7_INS8_IJNS_7UnMergeINS8_IJNSA_IiLi2EEESD_SV_SD_EEELb0EEEEEESL_NS8_IJNS2_IJLi1ELi2ELi3ELi4EEEEEEESZ_NSA_IlLl64EEEEENS_13DynamicBufferILNS_16AddressSpaceEnumE2EaSO_Lb1ELNS_22AmdBufferCoherenceEnumE0EiEES16_NS_12StaticBufferILS14_4EiLi64ELb1EEEEEvRKT_RKT0_RKT1_RT2_EUlS19_E_EEvS19_@rel32@hi+12
.LBB6_1:                                ; =>This Inner Loop Header: Depth=1
	v_mul_hi_u32 v0, s40, v56
	v_add_u32_e32 v2, s89, v49
	v_add_u32_e32 v0, v2, v0
	v_lshrrev_b32_e32 v12, s69, v0
	v_mul_lo_u32 v0, s45, v12
	v_add_u32_e32 v3, v2, v0
	v_sub_u32_e32 v0, v0, v44
	v_add_u32_e32 v0, v2, v0
	v_mad_u64_u32 v[6:7], s[4:5], v0, s43, v[38:39]
	v_mul_hi_u32 v1, s40, v55
	v_cmp_gt_i32_e64 s[4:5], s78, v2
	v_add_u32_e32 v2, s89, v50
	v_add_u32_e32 v0, v2, v1
	v_lshrrev_b32_e32 v1, s69, v0
	v_mul_hi_u32 v4, v12, s70
	v_mad_u64_u32 v[8:9], s[12:13], s45, v1, v[2:3]
	v_add_u32_e32 v13, v12, v4
	v_add_u32_e32 v4, s87, v48
	;; [unrolled: 1-line block ×3, first 2 shown]
	v_sub_u32_e32 v0, v8, v3
	v_mul_hi_u32 v3, v1, s70
	v_add_u32_e32 v7, v1, v3
	v_cmp_gt_i32_e32 vcc, s78, v2
	v_cmp_gt_i32_e64 s[12:13], s79, v4
	buffer_load_dwordx4 v[2:5], v5, s[52:55], 0 offen
	s_and_b64 s[12:13], s[10:11], s[12:13]
	v_mul_hi_u32 v10, s40, v54
	v_mul_hi_u32 v11, s40, v53
	v_add_u32_e32 v63, s89, v52
	s_add_i32 s14, s88, s90
	s_add_i32 s14, s14, s14
	v_add_u32_e32 v57, s14, v57
	v_mul_lo_u32 v0, v0, s43
	v_add_u32_e32 v60, s87, v46
	v_add_u32_e32 v59, v46, v43
	s_waitcnt vmcnt(0)
	v_cndmask_b32_e64 v68, 0, v3, s[12:13]
	v_cndmask_b32_e64 v14, 0, v2, s[12:13]
	v_add_u32_e32 v2, s87, v47
	v_add_u32_e32 v3, v47, v43
	v_cndmask_b32_e64 v67, 0, v5, s[12:13]
	v_cndmask_b32_e64 v9, 0, v4, s[12:13]
	v_cmp_gt_i32_e64 s[12:13], s79, v2
	buffer_load_dwordx4 v[2:5], v3, s[52:55], 0 offen
	s_and_b64 s[12:13], s[10:11], s[12:13]
	v_perm_b32 v75, v9, v9, s92
	v_perm_b32 v76, v14, v14, s92
	s_waitcnt vmcnt(0)
	v_cndmask_b32_e64 v2, 0, v2, s[12:13]
	v_cndmask_b32_e64 v72, 0, v3, s[12:13]
	;; [unrolled: 1-line block ×3, first 2 shown]
	v_perm_b32 v74, v2, v2, s92
	v_add_u32_e32 v2, s89, v51
	v_perm_b32 v73, v3, v3, s92
	v_add_u32_e32 v3, v2, v10
	v_lshrrev_b32_e32 v69, s69, v3
	v_cndmask_b32_e64 v71, 0, v5, s[12:13]
	v_mad_u64_u32 v[4:5], s[12:13], s45, v69, v[2:3]
	v_cmp_gt_i32_e64 s[12:13], s78, v2
	v_add_u32_e32 v2, v63, v11
	v_lshrrev_b32_e32 v65, s69, v2
	v_mul_lo_u32 v2, v65, s65
	v_mul_lo_u32 v58, s45, v65
	v_sub_u32_e32 v44, v57, v2
	v_add_u32_e32 v2, v63, v58
	v_sub_u32_e32 v3, v4, v8
	v_sub_u32_e32 v64, v2, v4
	v_mul_hi_u32 v2, v65, s70
	v_lshrrev_b32_e32 v8, s68, v13
	v_add_u32_e32 v66, v65, v2
	v_mul_lo_u32 v2, v8, s64
	v_sub_u32_e32 v9, v12, v2
	v_mul_lo_u32 v38, v3, s43
	v_sub_u32_e32 v2, v8, v61
	v_sub_u32_e32 v3, v9, v62
	v_mul_lo_u32 v3, v3, s91
	v_mul_lo_u32 v2, v2, s37
	v_add_u32_e32 v10, v2, v36
	v_add_u32_e32 v11, v3, v35
	v_mul_lo_u32 v2, v2, s41
	v_mul_lo_u32 v3, v3, s42
	v_mul_hi_u32 v5, v69, s70
	v_add3_u32 v6, v6, v2, v3
	v_add_u32_e32 v70, v69, v5
	buffer_load_dwordx4 v[2:5], v6, s[48:51], 0 offen
	v_cmp_le_i32_e64 s[14:15], s60, v11
	v_cmp_gt_i32_e64 s[16:17], s61, v11
	s_and_b64 s[14:15], s[14:15], s[16:17]
	s_and_b64 s[16:17], s[4:5], s[14:15]
	v_cmp_le_i32_e64 s[4:5], s29, v10
	v_cmp_gt_i32_e64 s[14:15], s71, v10
	s_and_b64 s[4:5], s[4:5], s[14:15]
	s_and_b64 s[4:5], s[4:5], s[16:17]
	;; [unrolled: 1-line block ×3, first 2 shown]
	v_lshrrev_b32_e32 v62, s68, v7
	s_waitcnt vmcnt(0)
	v_cndmask_b32_e64 v85, 0, v2, s[4:5]
	v_mul_lo_u32 v2, v62, s64
	v_sub_u32_e32 v77, v1, v2
	v_sub_u32_e32 v1, v62, v8
	;; [unrolled: 1-line block ×3, first 2 shown]
	v_mul_lo_u32 v2, v2, s91
	v_mul_lo_u32 v1, v1, s37
	v_cndmask_b32_e64 v35, 0, v5, s[4:5]
	v_cndmask_b32_e64 v36, 0, v4, s[4:5]
	;; [unrolled: 1-line block ×3, first 2 shown]
	v_add_u32_e32 v78, v1, v10
	v_add_u32_e32 v79, v2, v11
	v_mul_lo_u32 v2, v2, s42
	v_mad_u64_u32 v[0:1], s[4:5], v1, s41, v[0:1]
	v_add3_u32 v80, v0, v6, v2
	buffer_load_dwordx4 v[0:3], v80, s[48:51], 0 offen
	v_cmp_le_i32_e64 s[4:5], s60, v79
	v_cmp_gt_i32_e64 s[14:15], s61, v79
	s_and_b64 s[4:5], s[4:5], s[14:15]
	s_and_b64 s[14:15], vcc, s[4:5]
	v_cmp_le_i32_e32 vcc, s29, v78
	v_cmp_gt_i32_e64 s[4:5], s71, v78
	s_and_b64 s[4:5], vcc, s[4:5]
	s_and_b64 s[4:5], s[4:5], s[14:15]
	s_and_b64 vcc, s[8:9], s[4:5]
	s_waitcnt lgkmcnt(0)
	s_barrier
	buffer_store_dword v42, off, s[0:3], 0
	buffer_store_dword v42, off, s[0:3], 0 offset:4
	buffer_store_dword v42, off, s[0:3], 0 offset:8
	;; [unrolled: 1-line block ×15, first 2 shown]
	s_waitcnt vmcnt(16)
	v_cndmask_b32_e32 v84, 0, v0, vcc
	buffer_load_dword v0, off, s[0:3], 0 offset:80
	v_cndmask_b32_e32 v81, 0, v3, vcc
	v_cndmask_b32_e32 v82, 0, v2, vcc
	buffer_load_dword v2, off, s[0:3], 0 offset:400
	buffer_load_dword v3, off, s[0:3], 0 offset:404
	v_cndmask_b32_e32 v83, 0, v1, vcc
	s_waitcnt vmcnt(2)
	v_ashrrev_i32_e32 v1, 31, v0
	s_waitcnt vmcnt(1)
	v_add_co_u32_e32 v12, vcc, v2, v0
	s_waitcnt vmcnt(0)
	v_addc_co_u32_e32 v13, vcc, v3, v1, vcc
	flat_load_dwordx4 v[0:3], v[12:13]
	s_waitcnt vmcnt(0) lgkmcnt(0)
	buffer_store_dword v0, off, s[0:3], 0
	buffer_store_dword v1, off, s[0:3], 0 offset:4
	buffer_store_dword v2, off, s[0:3], 0 offset:8
	;; [unrolled: 1-line block ×3, first 2 shown]
	buffer_load_dword v4, off, s[0:3], 0 offset:112
	buffer_load_dword v6, off, s[0:3], 0 offset:416
	;; [unrolled: 1-line block ×3, first 2 shown]
	s_waitcnt vmcnt(2)
	v_ashrrev_i32_e32 v5, 31, v4
	s_waitcnt vmcnt(1)
	v_add_co_u32_e32 v8, vcc, v6, v4
	s_waitcnt vmcnt(0)
	v_addc_co_u32_e32 v9, vcc, v7, v5, vcc
	flat_load_dwordx4 v[4:7], v[8:9]
	s_waitcnt vmcnt(0) lgkmcnt(0)
	buffer_store_dword v4, off, s[0:3], 0 offset:32
	buffer_store_dword v5, off, s[0:3], 0 offset:36
	;; [unrolled: 1-line block ×4, first 2 shown]
	flat_load_dwordx4 v[8:11], v[8:9] offset:256
	s_waitcnt vmcnt(0) lgkmcnt(0)
	buffer_store_dword v8, off, s[0:3], 0 offset:48
	buffer_store_dword v9, off, s[0:3], 0 offset:52
	;; [unrolled: 1-line block ×4, first 2 shown]
	flat_load_dwordx4 v[12:15], v[12:13] offset:256
	s_waitcnt vmcnt(0) lgkmcnt(0)
	buffer_store_dword v12, off, s[0:3], 0 offset:16
	buffer_store_dword v13, off, s[0:3], 0 offset:20
	;; [unrolled: 1-line block ×4, first 2 shown]
	buffer_load_dword v12, off, s[0:3], 0 offset:144
	s_waitcnt vmcnt(0)
	v_dot4c_i32_i8_e32 v12, v0, v4
	s_nop 2
	buffer_store_dword v12, off, s[0:3], 0 offset:144
	buffer_load_dword v12, off, s[0:3], 0 offset:148
	s_waitcnt vmcnt(0)
	v_dot4c_i32_i8_e32 v12, v0, v5
	s_nop 2
	buffer_store_dword v12, off, s[0:3], 0 offset:148
	buffer_load_dword v12, off, s[0:3], 0 offset:152
	s_waitcnt vmcnt(0)
	v_dot4c_i32_i8_e32 v12, v0, v6
	s_nop 2
	buffer_store_dword v12, off, s[0:3], 0 offset:152
	buffer_load_dword v12, off, s[0:3], 0 offset:156
	s_waitcnt vmcnt(0)
	v_dot4c_i32_i8_e32 v12, v0, v7
	s_nop 2
	buffer_store_dword v12, off, s[0:3], 0 offset:156
	buffer_load_dword v12, off, s[0:3], 0 offset:176
	s_waitcnt vmcnt(0)
	v_dot4c_i32_i8_e32 v12, v1, v4
	s_nop 2
	buffer_store_dword v12, off, s[0:3], 0 offset:176
	buffer_load_dword v12, off, s[0:3], 0 offset:180
	s_waitcnt vmcnt(0)
	v_dot4c_i32_i8_e32 v12, v1, v5
	s_nop 2
	buffer_store_dword v12, off, s[0:3], 0 offset:180
	buffer_load_dword v12, off, s[0:3], 0 offset:184
	s_waitcnt vmcnt(0)
	v_dot4c_i32_i8_e32 v12, v1, v6
	s_nop 2
	buffer_store_dword v12, off, s[0:3], 0 offset:184
	buffer_load_dword v12, off, s[0:3], 0 offset:188
	s_waitcnt vmcnt(0)
	v_dot4c_i32_i8_e32 v12, v1, v7
	s_nop 2
	buffer_store_dword v12, off, s[0:3], 0 offset:188
	buffer_load_dword v12, off, s[0:3], 0 offset:208
	s_waitcnt vmcnt(0)
	v_dot4c_i32_i8_e32 v12, v2, v4
	s_nop 2
	buffer_store_dword v12, off, s[0:3], 0 offset:208
	buffer_load_dword v12, off, s[0:3], 0 offset:212
	s_waitcnt vmcnt(0)
	v_dot4c_i32_i8_e32 v12, v2, v5
	s_nop 2
	buffer_store_dword v12, off, s[0:3], 0 offset:212
	buffer_load_dword v12, off, s[0:3], 0 offset:216
	s_waitcnt vmcnt(0)
	v_dot4c_i32_i8_e32 v12, v2, v6
	s_nop 2
	buffer_store_dword v12, off, s[0:3], 0 offset:216
	buffer_load_dword v12, off, s[0:3], 0 offset:220
	s_waitcnt vmcnt(0)
	v_dot4c_i32_i8_e32 v12, v2, v7
	s_nop 2
	buffer_store_dword v12, off, s[0:3], 0 offset:220
	buffer_load_dword v12, off, s[0:3], 0 offset:240
	s_waitcnt vmcnt(0)
	v_dot4c_i32_i8_e32 v12, v3, v4
	buffer_load_dword v4, off, s[0:3], 0 offset:244
	s_waitcnt vmcnt(0)
	v_dot4c_i32_i8_e32 v4, v3, v5
	s_nop 2
	buffer_store_dword v4, off, s[0:3], 0 offset:244
	buffer_load_dword v4, off, s[0:3], 0 offset:248
	v_mov_b32_e32 v5, s94
	buffer_store_dword v12, off, s[0:3], 0 offset:240
	s_waitcnt vmcnt(1)
	v_dot4c_i32_i8_e32 v4, v3, v6
	s_nop 2
	buffer_store_dword v4, off, s[0:3], 0 offset:248
	buffer_load_dword v4, off, s[0:3], 0 offset:252
	v_mov_b32_e32 v6, s95
	s_waitcnt vmcnt(0)
	v_dot4c_i32_i8_e32 v4, v3, v7
	s_nop 2
	buffer_store_dword v4, off, s[0:3], 0 offset:252
	buffer_load_dword v4, off, s[0:3], 0 offset:160
	v_mov_b32_e32 v7, s96
	s_waitcnt vmcnt(0)
	v_dot4c_i32_i8_e32 v4, v0, v8
	s_nop 2
	buffer_store_dword v4, off, s[0:3], 0 offset:160
	buffer_load_dword v4, off, s[0:3], 0 offset:164
	s_waitcnt vmcnt(0)
	v_dot4c_i32_i8_e32 v4, v0, v9
	s_nop 2
	buffer_store_dword v4, off, s[0:3], 0 offset:164
	buffer_load_dword v4, off, s[0:3], 0 offset:168
	s_waitcnt vmcnt(0)
	v_dot4c_i32_i8_e32 v4, v0, v10
	s_nop 2
	buffer_store_dword v4, off, s[0:3], 0 offset:168
	buffer_load_dword v4, off, s[0:3], 0 offset:172
	s_waitcnt vmcnt(0)
	v_dot4c_i32_i8_e32 v4, v0, v11
	buffer_load_dword v0, off, s[0:3], 0 offset:192
	s_waitcnt vmcnt(0)
	v_dot4c_i32_i8_e32 v0, v1, v8
	s_nop 2
	buffer_store_dword v0, off, s[0:3], 0 offset:192
	buffer_load_dword v0, off, s[0:3], 0 offset:196
	s_waitcnt vmcnt(0)
	v_dot4c_i32_i8_e32 v0, v1, v9
	s_nop 2
	buffer_store_dword v0, off, s[0:3], 0 offset:196
	;; [unrolled: 5-line block ×4, first 2 shown]
	buffer_load_dword v0, off, s[0:3], 0 offset:224
	v_mov_b32_e32 v1, s47
	buffer_store_dword v4, off, s[0:3], 0 offset:172
	v_mov_b32_e32 v4, s93
	s_waitcnt vmcnt(1)
	v_dot4c_i32_i8_e32 v0, v2, v8
	s_nop 2
	buffer_store_dword v0, off, s[0:3], 0 offset:224
	buffer_load_dword v0, off, s[0:3], 0 offset:228
	s_waitcnt vmcnt(0)
	v_dot4c_i32_i8_e32 v0, v2, v9
	s_nop 2
	buffer_store_dword v0, off, s[0:3], 0 offset:228
	buffer_load_dword v0, off, s[0:3], 0 offset:232
	;; [unrolled: 5-line block ×4, first 2 shown]
	v_mov_b32_e32 v2, s82
	s_waitcnt vmcnt(0)
	v_dot4c_i32_i8_e32 v0, v3, v8
	s_nop 2
	buffer_store_dword v0, off, s[0:3], 0 offset:256
	buffer_load_dword v0, off, s[0:3], 0 offset:260
	v_mov_b32_e32 v8, s63
	s_waitcnt vmcnt(0)
	v_dot4c_i32_i8_e32 v0, v3, v9
	s_nop 2
	buffer_store_dword v0, off, s[0:3], 0 offset:260
	buffer_load_dword v0, off, s[0:3], 0 offset:264
	;; [unrolled: 6-line block ×3, first 2 shown]
	v_mov_b32_e32 v10, s81
	s_waitcnt vmcnt(0)
	v_dot4c_i32_i8_e32 v0, v3, v11
	s_nop 2
	buffer_store_dword v0, off, s[0:3], 0 offset:268
	v_mov_b32_e32 v0, s75
	v_mov_b32_e32 v3, s83
	;; [unrolled: 1-line block ×3, first 2 shown]
	s_swappc_b64 s[30:31], s[56:57]
	buffer_load_dword v0, off, s[0:3], 0 offset:32
	buffer_load_dword v1, off, s[0:3], 0 offset:36
	;; [unrolled: 1-line block ×12, first 2 shown]
	s_waitcnt vmcnt(5)
	v_dot4c_i32_i8_e32 v6, v4, v0
	s_nop 2
	buffer_store_dword v6, off, s[0:3], 0 offset:272
	buffer_load_dword v6, off, s[0:3], 0 offset:312
	s_waitcnt vmcnt(6)
	v_dot4c_i32_i8_e32 v7, v4, v1
	s_waitcnt vmcnt(5)
	v_dot4c_i32_i8_e32 v8, v4, v2
	s_waitcnt vmcnt(4)
	v_dot4c_i32_i8_e32 v9, v4, v3
	s_waitcnt vmcnt(3)
	v_dot4c_i32_i8_e32 v10, v5, v0
	s_waitcnt vmcnt(2)
	v_dot4c_i32_i8_e32 v11, v5, v1
	buffer_store_dword v7, off, s[0:3], 0 offset:276
	buffer_store_dword v8, off, s[0:3], 0 offset:280
	;; [unrolled: 1-line block ×5, first 2 shown]
	s_waitcnt vmcnt(5)
	v_dot4c_i32_i8_e32 v6, v5, v2
	s_nop 2
	buffer_store_dword v6, off, s[0:3], 0 offset:312
	buffer_load_dword v6, off, s[0:3], 0 offset:316
	s_waitcnt vmcnt(0)
	v_dot4c_i32_i8_e32 v6, v5, v3
	s_nop 2
	buffer_store_dword v6, off, s[0:3], 0 offset:316
	buffer_load_dword v6, off, s[0:3], 0 offset:24
	s_nop 0
	buffer_load_dword v7, off, s[0:3], 0 offset:336
	s_waitcnt vmcnt(0)
	v_dot4c_i32_i8_e32 v7, v6, v0
	s_nop 2
	buffer_store_dword v7, off, s[0:3], 0 offset:336
	buffer_load_dword v7, off, s[0:3], 0 offset:340
	s_waitcnt vmcnt(0)
	v_dot4c_i32_i8_e32 v7, v6, v1
	s_nop 2
	buffer_store_dword v7, off, s[0:3], 0 offset:340
	;; [unrolled: 5-line block ×4, first 2 shown]
	buffer_load_dword v7, off, s[0:3], 0 offset:28
	s_nop 0
	buffer_load_dword v8, off, s[0:3], 0 offset:368
	s_waitcnt vmcnt(0)
	v_dot4c_i32_i8_e32 v8, v7, v0
	buffer_load_dword v0, off, s[0:3], 0 offset:372
	s_waitcnt vmcnt(0)
	v_dot4c_i32_i8_e32 v0, v7, v1
	s_nop 2
	buffer_store_dword v0, off, s[0:3], 0 offset:372
	buffer_load_dword v0, off, s[0:3], 0 offset:376
	s_waitcnt vmcnt(0)
	v_dot4c_i32_i8_e32 v0, v7, v2
	s_nop 2
	buffer_store_dword v0, off, s[0:3], 0 offset:376
	buffer_load_dword v0, off, s[0:3], 0 offset:380
	s_waitcnt vmcnt(0)
	v_dot4c_i32_i8_e32 v0, v7, v3
	buffer_store_dword v8, off, s[0:3], 0 offset:368
	s_nop 1
	buffer_store_dword v0, off, s[0:3], 0 offset:380
	buffer_load_dword v0, off, s[0:3], 0 offset:48
	s_nop 0
	buffer_load_dword v1, off, s[0:3], 0 offset:288
	s_waitcnt vmcnt(0)
	v_dot4c_i32_i8_e32 v1, v4, v0
	s_nop 2
	buffer_store_dword v1, off, s[0:3], 0 offset:288
	buffer_load_dword v1, off, s[0:3], 0 offset:52
	s_nop 0
	buffer_load_dword v2, off, s[0:3], 0 offset:292
	s_waitcnt vmcnt(0)
	v_dot4c_i32_i8_e32 v2, v4, v1
	;; [unrolled: 7-line block ×4, first 2 shown]
	buffer_load_dword v4, off, s[0:3], 0 offset:320
	s_waitcnt vmcnt(0)
	v_dot4c_i32_i8_e32 v4, v5, v0
	s_nop 2
	buffer_store_dword v4, off, s[0:3], 0 offset:320
	buffer_load_dword v4, off, s[0:3], 0 offset:324
	s_waitcnt vmcnt(0)
	v_dot4c_i32_i8_e32 v4, v5, v1
	s_nop 2
	buffer_store_dword v4, off, s[0:3], 0 offset:324
	;; [unrolled: 5-line block ×8, first 2 shown]
	buffer_load_dword v4, off, s[0:3], 0 offset:384
	s_waitcnt vmcnt(0)
	v_dot4c_i32_i8_e32 v4, v7, v0
	buffer_load_dword v0, off, s[0:3], 0 offset:388
	s_waitcnt vmcnt(0)
	v_dot4c_i32_i8_e32 v0, v7, v1
	s_nop 2
	buffer_store_dword v0, off, s[0:3], 0 offset:388
	buffer_load_dword v0, off, s[0:3], 0 offset:392
	s_waitcnt vmcnt(0)
	v_dot4c_i32_i8_e32 v0, v7, v2
	s_nop 2
	buffer_store_dword v0, off, s[0:3], 0 offset:392
	buffer_load_dword v0, off, s[0:3], 0 offset:396
	v_perm_b32 v2, v85, v85, s92
	buffer_store_dword v8, off, s[0:3], 0 offset:300
	buffer_store_dword v4, off, s[0:3], 0 offset:384
	v_lshrrev_b32_e32 v8, s68, v70
	s_waitcnt vmcnt(2)
	v_dot4c_i32_i8_e32 v0, v7, v3
	s_nop 2
	buffer_store_dword v0, off, s[0:3], 0 offset:396
	buffer_load_dword v4, off, s[0:3], 0 offset:432
	buffer_load_dword v5, off, s[0:3], 0 offset:436
	s_waitcnt vmcnt(1)
	v_add_co_u32_e32 v0, vcc, v4, v34
	s_waitcnt vmcnt(0)
	v_addc_co_u32_e32 v1, vcc, 0, v5, vcc
	flat_store_dword v[0:1], v2
	flat_store_dword v[0:1], v61 offset:512
	v_perm_b32 v2, v36, v36, s92
	flat_store_dword v[0:1], v2 offset:1024
	flat_store_dword v[0:1], v35 offset:1536
	v_perm_b32 v2, v84, v84, s92
	flat_store_dword v[0:1], v2 offset:2048
	;; [unrolled: 3-line block ×3, first 2 shown]
	flat_store_dword v[0:1], v81 offset:3584
	buffer_load_dword v6, off, s[0:3], 0 offset:448
	buffer_load_dword v7, off, s[0:3], 0 offset:452
	v_lshrrev_b32_e32 v61, s68, v66
	s_waitcnt vmcnt(0)
	v_add_co_u32_e32 v0, vcc, v6, v34
	v_addc_co_u32_e32 v1, vcc, 0, v7, vcc
	flat_store_dword v[0:1], v76
	flat_store_dword v[0:1], v68 offset:512
	flat_store_dword v[0:1], v75 offset:1024
	;; [unrolled: 1-line block ×7, first 2 shown]
	v_mul_lo_u32 v0, v8, s64
	v_sub_u32_e32 v9, v69, v0
	v_sub_u32_e32 v0, v8, v62
	;; [unrolled: 1-line block ×3, first 2 shown]
	v_mul_lo_u32 v1, v1, s91
	v_mul_lo_u32 v0, v0, s37
	v_add_u32_e32 v10, v0, v78
	v_add_u32_e32 v11, v1, v79
	v_mul_lo_u32 v2, v1, s42
	v_mad_u64_u32 v[0:1], s[4:5], v0, s41, v[38:39]
	v_add3_u32 v12, v0, v2, v80
	buffer_load_dwordx4 v[0:3], v12, s[48:51], 0 offen
	v_cmp_le_i32_e32 vcc, s60, v11
	v_cmp_gt_i32_e64 s[4:5], s61, v11
	s_and_b64 s[4:5], vcc, s[4:5]
	s_and_b64 s[12:13], s[12:13], s[4:5]
	v_cmp_le_i32_e32 vcc, s29, v10
	v_cmp_gt_i32_e64 s[4:5], s71, v10
	s_and_b64 s[4:5], vcc, s[4:5]
	s_and_b64 s[4:5], s[4:5], s[12:13]
	s_and_b64 vcc, s[8:9], s[4:5]
	s_waitcnt vmcnt(0)
	v_cndmask_b32_e32 v70, 0, v0, vcc
	v_mul_lo_u32 v0, v61, s64
	v_sub_u32_e32 v62, v65, v0
	v_cndmask_b32_e32 v69, 0, v1, vcc
	v_sub_u32_e32 v0, v61, v8
	v_sub_u32_e32 v1, v62, v9
	v_cndmask_b32_e32 v68, 0, v2, vcc
	v_mul_lo_u32 v1, v1, s91
	v_mul_lo_u32 v2, v0, s37
	v_mul_lo_u32 v0, v64, s43
	v_cndmask_b32_e32 v67, 0, v3, vcc
	v_add_u32_e32 v35, v1, v11
	v_mul_lo_u32 v3, v1, s36
	v_mad_u64_u32 v[0:1], s[4:5], v2, s24, v[0:1]
	v_add3_u32 v38, v0, v3, v12
	v_add_u32_e32 v36, v2, v10
	buffer_load_dwordx4 v[0:3], v38, s[48:51], 0 offen
	v_cmp_le_i32_e64 s[4:5], s60, v35
	v_cmp_gt_i32_e64 s[12:13], s61, v35
	v_cmp_gt_i32_e32 vcc, s78, v63
	s_and_b64 s[4:5], s[4:5], s[12:13]
	s_and_b64 s[12:13], vcc, s[4:5]
	v_cmp_le_i32_e32 vcc, s29, v36
	v_cmp_gt_i32_e64 s[4:5], s71, v36
	s_and_b64 s[4:5], vcc, s[4:5]
	s_and_b64 s[4:5], s[4:5], s[12:13]
	s_and_b64 vcc, s[8:9], s[4:5]
	s_waitcnt vmcnt(0)
	v_cndmask_b32_e32 v63, 0, v3, vcc
	v_cndmask_b32_e32 v64, 0, v2, vcc
	;; [unrolled: 1-line block ×4, first 2 shown]
	buffer_load_dwordx4 v[0:3], v59, s[52:55], 0 offen
	v_cmp_gt_i32_e32 vcc, s79, v60
	s_and_b64 vcc, s[10:11], vcc
	s_waitcnt vmcnt(0)
	v_cndmask_b32_e32 v60, 0, v1, vcc
	v_cndmask_b32_e32 v74, 0, v0, vcc
	v_add_u32_e32 v0, s87, v45
	v_add_u32_e32 v1, v45, v43
	v_cndmask_b32_e32 v59, 0, v3, vcc
	v_cndmask_b32_e32 v65, 0, v2, vcc
	v_cmp_gt_i32_e32 vcc, s79, v0
	buffer_load_dwordx4 v[0:3], v1, s[52:55], 0 offen
	s_and_b64 vcc, s[10:11], vcc
	s_waitcnt lgkmcnt(0)
	s_barrier
	buffer_store_dword v42, off, s[0:3], 0
	buffer_store_dword v42, off, s[0:3], 0 offset:4
	buffer_store_dword v42, off, s[0:3], 0 offset:8
	;; [unrolled: 1-line block ×15, first 2 shown]
	s_waitcnt vmcnt(16)
	v_cndmask_b32_e32 v76, 0, v0, vcc
	buffer_load_dword v0, off, s[0:3], 0 offset:80
	v_cndmask_b32_e32 v71, 0, v3, vcc
	v_cndmask_b32_e32 v75, 0, v2, vcc
	;; [unrolled: 1-line block ×3, first 2 shown]
	s_waitcnt vmcnt(0)
	v_ashrrev_i32_e32 v1, 31, v0
	v_add_co_u32_e32 v12, vcc, v4, v0
	v_addc_co_u32_e32 v13, vcc, v5, v1, vcc
	flat_load_dwordx4 v[0:3], v[12:13]
	s_waitcnt vmcnt(0) lgkmcnt(0)
	buffer_store_dword v0, off, s[0:3], 0
	buffer_store_dword v1, off, s[0:3], 0 offset:4
	buffer_store_dword v2, off, s[0:3], 0 offset:8
	;; [unrolled: 1-line block ×3, first 2 shown]
	buffer_load_dword v4, off, s[0:3], 0 offset:112
	s_waitcnt vmcnt(0)
	v_ashrrev_i32_e32 v5, 31, v4
	v_add_co_u32_e32 v4, vcc, v6, v4
	v_addc_co_u32_e32 v5, vcc, v7, v5, vcc
	flat_load_dwordx4 v[8:11], v[4:5]
	s_waitcnt vmcnt(0) lgkmcnt(0)
	buffer_store_dword v8, off, s[0:3], 0 offset:32
	buffer_store_dword v9, off, s[0:3], 0 offset:36
	;; [unrolled: 1-line block ×4, first 2 shown]
	flat_load_dwordx4 v[4:7], v[4:5] offset:256
	s_waitcnt vmcnt(0) lgkmcnt(0)
	buffer_store_dword v4, off, s[0:3], 0 offset:48
	buffer_store_dword v5, off, s[0:3], 0 offset:52
	;; [unrolled: 1-line block ×4, first 2 shown]
	flat_load_dwordx4 v[12:15], v[12:13] offset:256
	s_waitcnt vmcnt(0) lgkmcnt(0)
	buffer_store_dword v12, off, s[0:3], 0 offset:16
	buffer_store_dword v13, off, s[0:3], 0 offset:20
	;; [unrolled: 1-line block ×4, first 2 shown]
	buffer_load_dword v12, off, s[0:3], 0 offset:144
	s_waitcnt vmcnt(0)
	v_dot4c_i32_i8_e32 v12, v0, v8
	s_nop 2
	buffer_store_dword v12, off, s[0:3], 0 offset:144
	buffer_load_dword v12, off, s[0:3], 0 offset:148
	s_waitcnt vmcnt(0)
	v_dot4c_i32_i8_e32 v12, v0, v9
	s_nop 2
	buffer_store_dword v12, off, s[0:3], 0 offset:148
	;; [unrolled: 5-line block ×12, first 2 shown]
	buffer_load_dword v12, off, s[0:3], 0 offset:240
	s_waitcnt vmcnt(0)
	v_dot4c_i32_i8_e32 v12, v3, v8
	buffer_load_dword v8, off, s[0:3], 0 offset:244
	s_waitcnt vmcnt(0)
	v_dot4c_i32_i8_e32 v8, v3, v9
	s_nop 2
	buffer_store_dword v8, off, s[0:3], 0 offset:244
	buffer_load_dword v8, off, s[0:3], 0 offset:248
	v_mov_b32_e32 v9, s72
	buffer_store_dword v12, off, s[0:3], 0 offset:240
	s_waitcnt vmcnt(1)
	v_dot4c_i32_i8_e32 v8, v3, v10
	s_nop 2
	buffer_store_dword v8, off, s[0:3], 0 offset:248
	buffer_load_dword v8, off, s[0:3], 0 offset:252
	v_mov_b32_e32 v10, s73
	s_waitcnt vmcnt(0)
	v_dot4c_i32_i8_e32 v8, v3, v11
	s_nop 2
	buffer_store_dword v8, off, s[0:3], 0 offset:252
	buffer_load_dword v8, off, s[0:3], 0 offset:160
	v_mov_b32_e32 v11, s74
	s_waitcnt vmcnt(0)
	v_dot4c_i32_i8_e32 v8, v0, v4
	s_nop 2
	buffer_store_dword v8, off, s[0:3], 0 offset:160
	buffer_load_dword v8, off, s[0:3], 0 offset:164
	s_waitcnt vmcnt(0)
	v_dot4c_i32_i8_e32 v8, v0, v5
	s_nop 2
	buffer_store_dword v8, off, s[0:3], 0 offset:164
	buffer_load_dword v8, off, s[0:3], 0 offset:168
	;; [unrolled: 5-line block ×3, first 2 shown]
	s_waitcnt vmcnt(0)
	v_dot4c_i32_i8_e32 v8, v0, v7
	buffer_load_dword v0, off, s[0:3], 0 offset:192
	s_waitcnt vmcnt(0)
	v_dot4c_i32_i8_e32 v0, v1, v4
	s_nop 2
	buffer_store_dword v0, off, s[0:3], 0 offset:192
	buffer_load_dword v0, off, s[0:3], 0 offset:196
	s_waitcnt vmcnt(0)
	v_dot4c_i32_i8_e32 v0, v1, v5
	s_nop 2
	buffer_store_dword v0, off, s[0:3], 0 offset:196
	;; [unrolled: 5-line block ×4, first 2 shown]
	buffer_load_dword v0, off, s[0:3], 0 offset:224
	v_mov_b32_e32 v1, s47
	buffer_store_dword v8, off, s[0:3], 0 offset:172
	v_mov_b32_e32 v8, s63
	s_waitcnt vmcnt(1)
	v_dot4c_i32_i8_e32 v0, v2, v4
	s_nop 2
	buffer_store_dword v0, off, s[0:3], 0 offset:224
	buffer_load_dword v0, off, s[0:3], 0 offset:228
	s_waitcnt vmcnt(0)
	v_dot4c_i32_i8_e32 v0, v2, v5
	s_nop 2
	buffer_store_dword v0, off, s[0:3], 0 offset:228
	buffer_load_dword v0, off, s[0:3], 0 offset:232
	;; [unrolled: 5-line block ×4, first 2 shown]
	v_mov_b32_e32 v2, s76
	s_waitcnt vmcnt(0)
	v_dot4c_i32_i8_e32 v0, v3, v4
	s_nop 2
	buffer_store_dword v0, off, s[0:3], 0 offset:256
	buffer_load_dword v0, off, s[0:3], 0 offset:260
	v_mov_b32_e32 v4, s93
	s_waitcnt vmcnt(0)
	v_dot4c_i32_i8_e32 v0, v3, v5
	s_nop 2
	buffer_store_dword v0, off, s[0:3], 0 offset:260
	buffer_load_dword v0, off, s[0:3], 0 offset:264
	;; [unrolled: 6-line block ×3, first 2 shown]
	v_mov_b32_e32 v6, s95
	s_waitcnt vmcnt(0)
	v_dot4c_i32_i8_e32 v0, v3, v7
	s_nop 2
	buffer_store_dword v0, off, s[0:3], 0 offset:268
	v_mov_b32_e32 v0, s75
	v_mov_b32_e32 v3, s77
	;; [unrolled: 1-line block ×3, first 2 shown]
	s_swappc_b64 s[30:31], s[56:57]
	buffer_load_dword v0, off, s[0:3], 0 offset:32
	buffer_load_dword v1, off, s[0:3], 0 offset:36
	;; [unrolled: 1-line block ×46, first 2 shown]
	s_add_i32 s46, s46, 32
	s_add_i32 s87, s87, s98
	s_add_i32 s89, s89, s99
	v_add_u32_e32 v43, s98, v43
	v_add_u32_e32 v56, s99, v56
	;; [unrolled: 1-line block ×4, first 2 shown]
	s_cmp_lt_i32 s46, s97
	v_add_u32_e32 v53, s99, v53
	s_waitcnt vmcnt(39)
	v_dot4c_i32_i8_e32 v6, v4, v0
	s_waitcnt vmcnt(38)
	v_dot4c_i32_i8_e32 v7, v4, v1
	;; [unrolled: 2-line block ×15, first 2 shown]
	v_perm_b32 v2, v70, v70, s92
	s_waitcnt vmcnt(22)
	v_dot4c_i32_i8_e32 v25, v21, v3
	v_perm_b32 v3, v65, v65, s92
	s_waitcnt vmcnt(17)
	v_dot4c_i32_i8_e32 v30, v4, v26
	s_waitcnt vmcnt(16)
	v_dot4c_i32_i8_e32 v31, v4, v29
	;; [unrolled: 2-line block ×16, first 2 shown]
	buffer_store_dword v6, off, s[0:3], 0 offset:272
	buffer_store_dword v7, off, s[0:3], 0 offset:276
	;; [unrolled: 1-line block ×18, first 2 shown]
	s_waitcnt vmcnt(18)
	v_add_co_u32_e32 v0, vcc, v9, v34
	v_addc_co_u32_e32 v1, vcc, 0, v8, vcc
	buffer_store_dword v32, off, s[0:3], 0 offset:296
	buffer_store_dword v33, off, s[0:3], 0 offset:300
	;; [unrolled: 1-line block ×14, first 2 shown]
	flat_store_dword v[0:1], v2
	flat_store_dword v[0:1], v69 offset:512
	v_perm_b32 v2, v68, v68, s92
	flat_store_dword v[0:1], v2 offset:1024
	flat_store_dword v[0:1], v67 offset:1536
	v_perm_b32 v2, v72, v72, s92
	flat_store_dword v[0:1], v2 offset:2048
	;; [unrolled: 3-line block ×3, first 2 shown]
	flat_store_dword v[0:1], v63 offset:3584
	buffer_load_dword v10, off, s[0:3], 0 offset:416
	buffer_load_dword v11, off, s[0:3], 0 offset:420
	v_perm_b32 v2, v74, v74, s92
	v_perm_b32 v4, v76, v76, s92
	v_perm_b32 v5, v75, v75, s92
	s_waitcnt vmcnt(0)
	v_add_co_u32_e32 v0, vcc, v10, v34
	v_addc_co_u32_e32 v1, vcc, 0, v11, vcc
	flat_store_dword v[0:1], v2
	flat_store_dword v[0:1], v60 offset:512
	flat_store_dword v[0:1], v3 offset:1024
	;; [unrolled: 1-line block ×7, first 2 shown]
	s_cbranch_scc1 .LBB6_1
; %bb.2:
	s_waitcnt lgkmcnt(0)
	s_barrier
	buffer_load_dword v20, off, s[0:3], 0 offset:80
	s_load_dwordx2 s[4:5], s[6:7], 0x10
	s_add_u32 s24, s66, s25
	s_mul_i32 s7, s20, s85
	s_mul_hi_u32 s12, s20, s84
	s_addc_u32 s25, s67, s18
	s_add_i32 s7, s12, s7
	s_mul_i32 s12, s21, s84
	s_add_i32 s7, s7, s12
	s_mul_i32 s12, s20, s84
	s_waitcnt lgkmcnt(0)
	s_add_u32 s36, s4, s12
	s_addc_u32 s37, s5, s7
	s_add_i32 s90, s90, s89
	v_add_u32_e32 v30, s90, v41
	v_mul_hi_u32 v0, v30, s40
	v_add_u32_e32 v0, v30, v0
	v_lshrrev_b32_e32 v2, s69, v0
	v_mul_hi_u32 v3, v2, s70
	v_add_u32_e32 v3, v2, v3
	v_lshrrev_b32_e32 v3, s68, v3
	v_mul_lo_u32 v0, v2, s65
	v_mul_lo_u32 v4, v3, s64
	v_add3_u32 v1, v41, v58, s89
	v_sub_u32_e32 v0, v30, v0
	v_sub_u32_e32 v2, v2, v4
	;; [unrolled: 1-line block ×5, first 2 shown]
	v_add_u32_e32 v33, s88, v30
	v_mul_lo_u32 v31, v4, s62
	v_mul_lo_u32 v32, v5, s44
	;; [unrolled: 1-line block ×3, first 2 shown]
	v_mul_hi_u32 v1, v33, s40
	v_mad_u64_u32 v[4:5], s[4:5], v32, s41, v[4:5]
	v_add_u32_e32 v1, v33, v1
	v_lshrrev_b32_e32 v5, s69, v1
	v_mul_lo_u32 v6, v31, s42
	v_mad_u64_u32 v[0:1], s[4:5], v5, s65, v[0:1]
	v_add3_u32 v4, v4, v6, v38
	v_sub_u32_e32 v6, v33, v0
	v_mul_hi_u32 v0, v5, s70
	v_add_u32_e32 v0, v5, v0
	v_lshrrev_b32_e32 v7, s68, v0
	v_mad_u64_u32 v[0:1], s[4:5], v7, s64, v[2:3]
	v_sub_u32_e32 v0, v5, v0
	v_sub_u32_e32 v1, v7, v3
	s_mul_i32 s6, s86, 12
	v_mul_lo_u32 v41, v0, s62
	v_mul_lo_u32 v42, v1, s44
	;; [unrolled: 1-line block ×3, first 2 shown]
	v_add3_u32 v12, v40, v43, s6
	v_mul_lo_u32 v2, v41, s42
	v_mad_u64_u32 v[0:1], s[4:5], v42, s41, v[0:1]
	v_mov_b32_e32 v38, 0
	v_add3_u32 v0, v0, v2, v4
	v_add_u32_e32 v16, s19, v12
	buffer_load_dwordx4 v[4:7], v4, s[48:51], 0 offen
	s_nop 0
	buffer_load_dwordx4 v[0:3], v0, s[48:51], 0 offen
	s_nop 0
	;; [unrolled: 2-line block ×4, first 2 shown]
	buffer_store_dword v38, off, s[0:3], 0
	buffer_store_dword v38, off, s[0:3], 0 offset:4
	buffer_store_dword v38, off, s[0:3], 0 offset:8
	;; [unrolled: 1-line block ×15, first 2 shown]
	buffer_load_dword v43, off, s[0:3], 0 offset:160
	buffer_load_dword v44, off, s[0:3], 0 offset:164
	;; [unrolled: 1-line block ×5, first 2 shown]
	s_add_i32 s6, s6, s87
	v_add_u32_e32 v40, s6, v40
	v_add_u32_e32 v31, v31, v35
	v_cmp_gt_i32_e64 s[20:21], s61, v31
	v_cmp_gt_i32_e64 s[4:5], s79, v40
	v_cmp_gt_i32_e64 s[6:7], s78, v33
	s_mov_b64 s[40:41], src_private_base
	s_waitcnt vmcnt(0)
	v_ashrrev_i32_e32 v21, 31, v20
	v_add_co_u32_e32 v28, vcc, v9, v20
	v_addc_co_u32_e32 v29, vcc, v8, v21, vcc
	flat_load_dwordx4 v[20:23], v[28:29]
	buffer_load_dword v47, off, s[0:3], 0 offset:192
	buffer_load_dword v48, off, s[0:3], 0 offset:196
	;; [unrolled: 1-line block ×3, first 2 shown]
	s_waitcnt vmcnt(0) lgkmcnt(0)
	buffer_store_dword v20, off, s[0:3], 0
	buffer_store_dword v21, off, s[0:3], 0 offset:4
	buffer_store_dword v22, off, s[0:3], 0 offset:8
	;; [unrolled: 1-line block ×3, first 2 shown]
	v_ashrrev_i32_e32 v8, 31, v24
	v_add_co_u32_e32 v24, vcc, v10, v24
	v_addc_co_u32_e32 v25, vcc, v11, v8, vcc
	flat_load_dwordx4 v[8:11], v[24:25]
	v_cmp_gt_i32_e32 vcc, s78, v30
	v_add_u32_e32 v30, s19, v40
	v_cmp_le_i32_e64 s[18:19], s60, v31
	v_cmp_gt_i32_e64 s[12:13], s79, v30
	v_add_u32_e32 v30, v32, v36
	s_and_b64 s[18:19], s[18:19], s[20:21]
	v_cmp_le_i32_e64 s[14:15], s29, v30
	v_cmp_gt_i32_e64 s[16:17], s71, v30
	v_add_u32_e32 v30, v42, v30
	s_and_b64 s[18:19], vcc, s[18:19]
	s_and_b64 vcc, s[10:11], s[4:5]
	s_and_b64 s[30:31], s[14:15], s[16:17]
	v_cmp_le_i32_e64 s[14:15], s29, v30
	v_cmp_gt_i32_e64 s[16:17], s71, v30
	v_add_u32_e32 v30, v41, v31
	v_cndmask_b32_e32 v35, 0, v15, vcc
	v_cndmask_b32_e32 v36, 0, v14, vcc
	;; [unrolled: 1-line block ×4, first 2 shown]
	s_and_b64 s[42:43], s[14:15], s[16:17]
	v_cmp_le_i32_e64 s[14:15], s60, v30
	v_cmp_gt_i32_e64 s[16:17], s61, v30
	s_and_b64 s[14:15], s[14:15], s[16:17]
	s_and_b64 s[16:17], s[30:31], s[18:19]
	;; [unrolled: 1-line block ×3, first 2 shown]
	s_and_b64 vcc, s[10:11], s[12:13]
	s_and_b64 s[6:7], s[42:43], s[6:7]
	v_cndmask_b32_e32 v42, 0, v19, vcc
	v_cndmask_b32_e32 v75, 0, v18, vcc
	;; [unrolled: 1-line block ×4, first 2 shown]
	s_and_b64 vcc, s[8:9], s[16:17]
	v_cndmask_b32_e32 v78, 0, v7, vcc
	v_cndmask_b32_e32 v79, 0, v6, vcc
	;; [unrolled: 1-line block ×4, first 2 shown]
	s_and_b64 vcc, s[8:9], s[6:7]
	v_cndmask_b32_e32 v82, 0, v3, vcc
	v_cndmask_b32_e32 v83, 0, v2, vcc
	;; [unrolled: 1-line block ×4, first 2 shown]
	v_mov_b32_e32 v0, s75
	v_mov_b32_e32 v1, s47
	;; [unrolled: 1-line block ×8, first 2 shown]
	s_waitcnt vmcnt(0) lgkmcnt(0)
	buffer_store_dword v8, off, s[0:3], 0 offset:32
	buffer_store_dword v9, off, s[0:3], 0 offset:36
	;; [unrolled: 1-line block ×4, first 2 shown]
	flat_load_dwordx4 v[24:27], v[24:25] offset:256
	s_nop 0
	buffer_load_dword v50, off, s[0:3], 0 offset:144
	buffer_load_dword v51, off, s[0:3], 0 offset:148
	;; [unrolled: 1-line block ×25, first 2 shown]
	v_dot4c_i32_i8_e32 v46, v20, v11
	v_dot4c_i32_i8_e32 v49, v21, v11
	s_waitcnt vmcnt(0) lgkmcnt(0)
	buffer_store_dword v24, off, s[0:3], 0 offset:48
	buffer_store_dword v25, off, s[0:3], 0 offset:52
	;; [unrolled: 1-line block ×4, first 2 shown]
	flat_load_dwordx4 v[12:15], v[28:29] offset:256
	v_dot4c_i32_i8_e32 v50, v20, v8
	v_dot4c_i32_i8_e32 v51, v20, v9
	;; [unrolled: 1-line block ×14, first 2 shown]
	v_mov_b32_e32 v8, s63
	v_mov_b32_e32 v9, s72
	;; [unrolled: 1-line block ×4, first 2 shown]
	v_dot4c_i32_i8_e32 v43, v20, v24
	v_dot4c_i32_i8_e32 v44, v20, v25
	;; [unrolled: 1-line block ×16, first 2 shown]
	buffer_store_dword v50, off, s[0:3], 0 offset:144
	buffer_store_dword v51, off, s[0:3], 0 offset:148
	;; [unrolled: 1-line block ×32, first 2 shown]
	s_waitcnt vmcnt(0) lgkmcnt(0)
	buffer_store_dword v12, off, s[0:3], 0 offset:16
	buffer_store_dword v13, off, s[0:3], 0 offset:20
	;; [unrolled: 1-line block ×4, first 2 shown]
	s_swappc_b64 s[30:31], s[56:57]
	buffer_load_dword v0, off, s[0:3], 0 offset:32
	buffer_load_dword v1, off, s[0:3], 0 offset:36
	;; [unrolled: 1-line block ×46, first 2 shown]
	s_mov_b32 s4, 0x3020104
	s_waitcnt vmcnt(39)
	v_dot4c_i32_i8_e32 v6, v4, v0
	s_waitcnt vmcnt(38)
	v_dot4c_i32_i8_e32 v7, v4, v1
	;; [unrolled: 2-line block ×15, first 2 shown]
	v_perm_b32 v2, v81, v81, s4
	s_waitcnt vmcnt(22)
	v_dot4c_i32_i8_e32 v23, v19, v3
	v_perm_b32 v3, v36, v36, s4
	s_waitcnt vmcnt(17)
	v_dot4c_i32_i8_e32 v28, v4, v24
	s_waitcnt vmcnt(16)
	v_dot4c_i32_i8_e32 v29, v4, v27
	;; [unrolled: 2-line block ×16, first 2 shown]
	buffer_store_dword v6, off, s[0:3], 0 offset:272
	buffer_store_dword v7, off, s[0:3], 0 offset:276
	;; [unrolled: 1-line block ×18, first 2 shown]
	s_waitcnt vmcnt(18)
	v_add_co_u32_e32 v0, vcc, v54, v34
	v_addc_co_u32_e32 v1, vcc, 0, v53, vcc
	buffer_store_dword v30, off, s[0:3], 0 offset:296
	buffer_store_dword v31, off, s[0:3], 0 offset:300
	;; [unrolled: 1-line block ×14, first 2 shown]
	flat_store_dword v[0:1], v2
	flat_store_dword v[0:1], v80 offset:512
	v_perm_b32 v2, v79, v79, s4
	flat_store_dword v[0:1], v2 offset:1024
	flat_store_dword v[0:1], v78 offset:1536
	v_perm_b32 v2, v85, v85, s4
	flat_store_dword v[0:1], v2 offset:2048
	;; [unrolled: 3-line block ×3, first 2 shown]
	flat_store_dword v[0:1], v82 offset:3584
	buffer_load_dword v4, off, s[0:3], 0 offset:448
	buffer_load_dword v5, off, s[0:3], 0 offset:452
	v_perm_b32 v2, v41, v41, s4
	v_perm_b32 v6, v77, v77, s4
	;; [unrolled: 1-line block ×3, first 2 shown]
	s_waitcnt vmcnt(0)
	v_add_co_u32_e32 v0, vcc, v4, v34
	v_addc_co_u32_e32 v1, vcc, 0, v5, vcc
	flat_store_dword v[0:1], v2
	flat_store_dword v[0:1], v40 offset:512
	flat_store_dword v[0:1], v3 offset:1024
	;; [unrolled: 1-line block ×7, first 2 shown]
	s_waitcnt lgkmcnt(0)
	s_barrier
	buffer_load_dword v0, off, s[0:3], 0 offset:80
	s_nop 0
	buffer_store_dword v38, off, s[0:3], 0
	buffer_store_dword v38, off, s[0:3], 0 offset:4
	buffer_store_dword v38, off, s[0:3], 0 offset:8
	;; [unrolled: 1-line block ×15, first 2 shown]
	buffer_load_dword v6, off, s[0:3], 0 offset:112
	buffer_load_dword v16, off, s[0:3], 0 offset:160
	;; [unrolled: 1-line block ×5, first 2 shown]
	s_waitcnt vmcnt(0)
	v_ashrrev_i32_e32 v7, 31, v6
	v_ashrrev_i32_e32 v1, 31, v0
	v_add_co_u32_e32 v12, vcc, v54, v0
	v_addc_co_u32_e32 v13, vcc, v53, v1, vcc
	flat_load_dwordx4 v[0:3], v[12:13]
	v_add_co_u32_e32 v8, vcc, v4, v6
	buffer_load_dword v20, off, s[0:3], 0 offset:192
	buffer_load_dword v21, off, s[0:3], 0 offset:196
	;; [unrolled: 1-line block ×3, first 2 shown]
	v_addc_co_u32_e32 v9, vcc, v5, v7, vcc
	s_waitcnt vmcnt(0) lgkmcnt(0)
	buffer_store_dword v0, off, s[0:3], 0
	buffer_store_dword v1, off, s[0:3], 0 offset:4
	buffer_store_dword v2, off, s[0:3], 0 offset:8
	;; [unrolled: 1-line block ×3, first 2 shown]
	flat_load_dwordx4 v[4:7], v[8:9]
	s_waitcnt vmcnt(0) lgkmcnt(0)
	buffer_store_dword v4, off, s[0:3], 0 offset:32
	buffer_store_dword v5, off, s[0:3], 0 offset:36
	;; [unrolled: 1-line block ×4, first 2 shown]
	flat_load_dwordx4 v[8:11], v[8:9] offset:256
	s_nop 0
	buffer_load_dword v23, off, s[0:3], 0 offset:144
	buffer_load_dword v24, off, s[0:3], 0 offset:148
	;; [unrolled: 1-line block ×25, first 2 shown]
	v_dot4c_i32_i8_e32 v19, v0, v7
	v_dot4c_i32_i8_e32 v22, v1, v7
	s_waitcnt vmcnt(0) lgkmcnt(0)
	buffer_store_dword v8, off, s[0:3], 0 offset:48
	buffer_store_dword v9, off, s[0:3], 0 offset:52
	buffer_store_dword v10, off, s[0:3], 0 offset:56
	buffer_store_dword v11, off, s[0:3], 0 offset:60
	flat_load_dwordx4 v[12:15], v[12:13] offset:256
	v_dot4c_i32_i8_e32 v23, v0, v4
	v_dot4c_i32_i8_e32 v24, v0, v5
	;; [unrolled: 1-line block ×30, first 2 shown]
	v_mov_b32_e32 v0, s75
	v_mov_b32_e32 v1, s47
	;; [unrolled: 1-line block ×12, first 2 shown]
	buffer_store_dword v23, off, s[0:3], 0 offset:144
	buffer_store_dword v24, off, s[0:3], 0 offset:148
	;; [unrolled: 1-line block ×32, first 2 shown]
	s_waitcnt vmcnt(0) lgkmcnt(0)
	buffer_store_dword v12, off, s[0:3], 0 offset:16
	buffer_store_dword v13, off, s[0:3], 0 offset:20
	;; [unrolled: 1-line block ×4, first 2 shown]
	s_swappc_b64 s[30:31], s[56:57]
	buffer_load_dword v0, off, s[0:3], 0 offset:32
	buffer_load_dword v1, off, s[0:3], 0 offset:36
	;; [unrolled: 1-line block ×46, first 2 shown]
	s_mov_b32 s39, 0x20000
	v_readlane_b32 s8, v89, 1
	s_lshl_b32 s10, s35, 6
	v_readlane_b32 s14, v89, 0
	s_mov_b32 s27, s39
	s_lshl_b32 s11, s23, 6
	s_waitcnt vmcnt(40)
	v_dot4c_i32_i8_e32 v5, v4, v0
	s_waitcnt vmcnt(39)
	v_dot4c_i32_i8_e32 v6, v4, v1
	s_waitcnt vmcnt(38)
	v_dot4c_i32_i8_e32 v7, v4, v2
	s_waitcnt vmcnt(37)
	v_dot4c_i32_i8_e32 v8, v4, v3
	s_waitcnt vmcnt(32)
	v_dot4c_i32_i8_e32 v12, v13, v3
	v_dot4c_i32_i8_e32 v9, v13, v0
	v_dot4c_i32_i8_e32 v10, v13, v1
	;; [unrolled: 1-line block ×3, first 2 shown]
	s_waitcnt vmcnt(30)
	v_dot4c_i32_i8_e32 v15, v14, v0
	s_waitcnt vmcnt(27)
	v_dot4c_i32_i8_e32 v18, v14, v3
	v_dot4c_i32_i8_e32 v16, v14, v1
	;; [unrolled: 1-line block ×3, first 2 shown]
	s_waitcnt vmcnt(25)
	v_dot4c_i32_i8_e32 v20, v19, v0
	s_waitcnt vmcnt(24)
	v_dot4c_i32_i8_e32 v21, v19, v1
	;; [unrolled: 2-line block ×3, first 2 shown]
	v_lshl_add_u32 v3, s58, 7, v39
	v_dot4c_i32_i8_e32 v22, v19, v2
	s_waitcnt vmcnt(19)
	v_dot4c_i32_i8_e32 v26, v4, v24
	s_waitcnt vmcnt(18)
	v_dot4c_i32_i8_e32 v27, v4, v25
	buffer_store_dword v5, off, s[0:3], 0 offset:272
	buffer_store_dword v6, off, s[0:3], 0 offset:276
	;; [unrolled: 1-line block ×18, first 2 shown]
	s_waitcnt vmcnt(34)
	v_dot4c_i32_i8_e32 v29, v4, v28
	v_lshl_add_u32 v2, s59, 7, v37
	s_waitcnt vmcnt(32)
	v_dot4c_i32_i8_e32 v31, v4, v30
	s_waitcnt vmcnt(31)
	v_dot4c_i32_i8_e32 v32, v13, v24
	buffer_store_dword v29, off, s[0:3], 0 offset:296
	s_waitcnt vmcnt(31)
	v_dot4c_i32_i8_e32 v33, v13, v25
	s_waitcnt vmcnt(30)
	v_dot4c_i32_i8_e32 v34, v13, v28
	;; [unrolled: 2-line block ×11, first 2 shown]
	v_mul_lo_u32 v0, v3, s34
	buffer_load_dword v5, off, s[0:3], 0 offset:172
	buffer_load_dword v6, off, s[0:3], 0 offset:168
	v_mad_u64_u32 v[0:1], s[4:5], v2, s35, v[0:1]
	buffer_store_dword v31, off, s[0:3], 0 offset:300
	buffer_store_dword v32, off, s[0:3], 0 offset:320
	;; [unrolled: 1-line block ×13, first 2 shown]
	buffer_load_dword v1, v0, s[36:39], 0 offen
	buffer_load_dword v4, off, s[0:3], 0 offset:152
	buffer_load_dword v7, off, s[0:3], 0 offset:148
	v_cmp_gt_i32_e32 vcc, s8, v2
	v_cmp_gt_i32_e64 s[4:5], s28, v3
	s_and_b64 s[6:7], s[4:5], vcc
	v_add_u32_e32 v8, s10, v0
	v_add_u32_e32 v0, s34, v0
	v_or_b32_e32 v15, 1, v3
	v_add_u32_e32 v16, s10, v0
	s_waitcnt vmcnt(2)
	v_cndmask_b32_e64 v1, 0, v1, s[6:7]
	v_add_u16_e32 v9, v1, v47
	v_add_u16_sdwa v10, v1, v48 dst_sel:DWORD dst_unused:UNUSED_PAD src0_sel:BYTE_3 src1_sel:DWORD
	s_waitcnt vmcnt(1)
	v_add_u16_sdwa v4, v1, v4 dst_sel:DWORD dst_unused:UNUSED_PAD src0_sel:WORD_1 src1_sel:DWORD
	s_waitcnt vmcnt(0)
	v_add_u16_sdwa v1, v1, v7 dst_sel:DWORD dst_unused:UNUSED_PAD src0_sel:BYTE_1 src1_sel:DWORD
	v_max_i16_sdwa v9, sext(v9), v38 dst_sel:DWORD dst_unused:UNUSED_PAD src0_sel:BYTE_0 src1_sel:DWORD
	v_max_i16_sdwa v1, sext(v1), v38 dst_sel:DWORD dst_unused:UNUSED_PAD src0_sel:BYTE_0 src1_sel:DWORD
	;; [unrolled: 1-line block ×4, first 2 shown]
	buffer_store_dword v9, off, s[0:3], 0 offset:144
	buffer_store_dword v10, off, s[0:3], 0 offset:156
	;; [unrolled: 1-line block ×4, first 2 shown]
	buffer_load_dword v9, off, s[0:3], 0 offset:144
	s_nop 0
	buffer_load_dword v1, v8, s[36:39], 0 offen
	buffer_load_dword v4, off, s[0:3], 0 offset:160
	buffer_load_dword v7, off, s[0:3], 0 offset:164
	v_add_u32_e32 v8, 64, v2
	v_cmp_gt_i32_e64 s[6:7], s8, v8
	s_and_b64 s[4:5], s[4:5], s[6:7]
	buffer_load_dword v10, off, s[0:3], 0 offset:156
	s_waitcnt vmcnt(3)
	v_cndmask_b32_e64 v1, 0, v1, s[4:5]
	s_waitcnt vmcnt(2)
	v_add_u16_e32 v4, v1, v4
	v_add_u16_sdwa v5, v1, v5 dst_sel:DWORD dst_unused:UNUSED_PAD src0_sel:BYTE_3 src1_sel:DWORD
	v_add_u16_sdwa v6, v1, v6 dst_sel:DWORD dst_unused:UNUSED_PAD src0_sel:WORD_1 src1_sel:DWORD
	s_waitcnt vmcnt(1)
	v_add_u16_sdwa v1, v1, v7 dst_sel:DWORD dst_unused:UNUSED_PAD src0_sel:BYTE_1 src1_sel:DWORD
	v_max_i16_sdwa v4, sext(v4), v38 dst_sel:DWORD dst_unused:UNUSED_PAD src0_sel:BYTE_0 src1_sel:DWORD
	v_max_i16_sdwa v1, sext(v1), v38 dst_sel:DWORD dst_unused:UNUSED_PAD src0_sel:BYTE_0 src1_sel:DWORD
	;; [unrolled: 1-line block ×4, first 2 shown]
	buffer_store_dword v4, off, s[0:3], 0 offset:160
	buffer_store_dword v5, off, s[0:3], 0 offset:172
	;; [unrolled: 1-line block ×4, first 2 shown]
	buffer_load_dword v1, v0, s[36:39], 0 offen
	s_nop 0
	buffer_load_dword v4, off, s[0:3], 0 offset:176
	buffer_load_dword v5, off, s[0:3], 0 offset:188
	;; [unrolled: 1-line block ×8, first 2 shown]
	v_cmp_gt_i32_e64 s[4:5], s28, v15
	s_and_b64 s[8:9], s[4:5], vcc
	s_and_b64 s[4:5], s[4:5], s[6:7]
	v_add_u32_e32 v0, s34, v0
	v_add_u32_e32 v17, s10, v0
	s_waitcnt vmcnt(8)
	v_cndmask_b32_e64 v1, 0, v1, s[8:9]
	s_waitcnt vmcnt(7)
	v_add_u16_e32 v4, v1, v4
	s_waitcnt vmcnt(6)
	v_add_u16_sdwa v5, v1, v5 dst_sel:DWORD dst_unused:UNUSED_PAD src0_sel:BYTE_3 src1_sel:DWORD
	s_waitcnt vmcnt(5)
	v_add_u16_sdwa v6, v1, v6 dst_sel:DWORD dst_unused:UNUSED_PAD src0_sel:WORD_1 src1_sel:DWORD
	s_waitcnt vmcnt(4)
	v_add_u16_sdwa v1, v1, v7 dst_sel:DWORD dst_unused:UNUSED_PAD src0_sel:BYTE_1 src1_sel:DWORD
	v_max_i16_sdwa v4, sext(v4), v38 dst_sel:DWORD dst_unused:UNUSED_PAD src0_sel:BYTE_0 src1_sel:DWORD
	v_max_i16_sdwa v1, sext(v1), v38 dst_sel:DWORD dst_unused:UNUSED_PAD src0_sel:BYTE_0 src1_sel:DWORD
	;; [unrolled: 1-line block ×4, first 2 shown]
	buffer_store_dword v4, off, s[0:3], 0 offset:176
	buffer_store_dword v5, off, s[0:3], 0 offset:188
	buffer_store_dword v6, off, s[0:3], 0 offset:184
	buffer_store_dword v1, off, s[0:3], 0 offset:180
	buffer_load_dword v1, v16, s[36:39], 0 offen
	v_or_b32_e32 v16, 2, v3
	s_waitcnt vmcnt(0)
	v_cndmask_b32_e64 v1, 0, v1, s[4:5]
	v_add_u16_e32 v4, v1, v11
	v_add_u16_sdwa v5, v1, v14 dst_sel:DWORD dst_unused:UNUSED_PAD src0_sel:BYTE_3 src1_sel:DWORD
	v_add_u16_sdwa v6, v1, v13 dst_sel:DWORD dst_unused:UNUSED_PAD src0_sel:WORD_1 src1_sel:DWORD
	v_add_u16_sdwa v1, v1, v12 dst_sel:DWORD dst_unused:UNUSED_PAD src0_sel:BYTE_1 src1_sel:DWORD
	v_max_i16_sdwa v4, sext(v4), v38 dst_sel:DWORD dst_unused:UNUSED_PAD src0_sel:BYTE_0 src1_sel:DWORD
	v_max_i16_sdwa v1, sext(v1), v38 dst_sel:DWORD dst_unused:UNUSED_PAD src0_sel:BYTE_0 src1_sel:DWORD
	;; [unrolled: 1-line block ×4, first 2 shown]
	buffer_store_dword v4, off, s[0:3], 0 offset:192
	buffer_store_dword v5, off, s[0:3], 0 offset:204
	;; [unrolled: 1-line block ×4, first 2 shown]
	buffer_load_dword v1, v0, s[36:39], 0 offen
	s_nop 0
	buffer_load_dword v4, off, s[0:3], 0 offset:208
	buffer_load_dword v5, off, s[0:3], 0 offset:220
	;; [unrolled: 1-line block ×8, first 2 shown]
	v_cmp_gt_i32_e64 s[4:5], s28, v16
	s_and_b64 s[8:9], s[4:5], vcc
	s_and_b64 s[4:5], s[4:5], s[6:7]
	v_add_u32_e32 v0, s34, v0
	v_add_u32_e32 v18, s10, v0
	s_waitcnt vmcnt(8)
	v_cndmask_b32_e64 v1, 0, v1, s[8:9]
	s_waitcnt vmcnt(7)
	v_add_u16_e32 v4, v1, v4
	s_waitcnt vmcnt(6)
	v_add_u16_sdwa v5, v1, v5 dst_sel:DWORD dst_unused:UNUSED_PAD src0_sel:BYTE_3 src1_sel:DWORD
	s_waitcnt vmcnt(5)
	v_add_u16_sdwa v6, v1, v6 dst_sel:DWORD dst_unused:UNUSED_PAD src0_sel:WORD_1 src1_sel:DWORD
	s_waitcnt vmcnt(4)
	v_add_u16_sdwa v1, v1, v7 dst_sel:DWORD dst_unused:UNUSED_PAD src0_sel:BYTE_1 src1_sel:DWORD
	v_max_i16_sdwa v4, sext(v4), v38 dst_sel:DWORD dst_unused:UNUSED_PAD src0_sel:BYTE_0 src1_sel:DWORD
	v_max_i16_sdwa v1, sext(v1), v38 dst_sel:DWORD dst_unused:UNUSED_PAD src0_sel:BYTE_0 src1_sel:DWORD
	;; [unrolled: 1-line block ×4, first 2 shown]
	buffer_store_dword v4, off, s[0:3], 0 offset:208
	buffer_store_dword v5, off, s[0:3], 0 offset:220
	buffer_store_dword v6, off, s[0:3], 0 offset:216
	buffer_store_dword v1, off, s[0:3], 0 offset:212
	buffer_load_dword v1, v17, s[36:39], 0 offen
	v_or_b32_e32 v17, 3, v3
	s_waitcnt vmcnt(0)
	v_cndmask_b32_e64 v1, 0, v1, s[4:5]
	v_add_u16_e32 v4, v1, v11
	v_add_u16_sdwa v5, v1, v14 dst_sel:DWORD dst_unused:UNUSED_PAD src0_sel:BYTE_3 src1_sel:DWORD
	v_add_u16_sdwa v6, v1, v13 dst_sel:DWORD dst_unused:UNUSED_PAD src0_sel:WORD_1 src1_sel:DWORD
	v_add_u16_sdwa v1, v1, v12 dst_sel:DWORD dst_unused:UNUSED_PAD src0_sel:BYTE_1 src1_sel:DWORD
	v_max_i16_sdwa v4, sext(v4), v38 dst_sel:DWORD dst_unused:UNUSED_PAD src0_sel:BYTE_0 src1_sel:DWORD
	v_max_i16_sdwa v1, sext(v1), v38 dst_sel:DWORD dst_unused:UNUSED_PAD src0_sel:BYTE_0 src1_sel:DWORD
	;; [unrolled: 1-line block ×4, first 2 shown]
	buffer_store_dword v4, off, s[0:3], 0 offset:224
	buffer_store_dword v5, off, s[0:3], 0 offset:236
	;; [unrolled: 1-line block ×4, first 2 shown]
	buffer_load_dword v1, v0, s[36:39], 0 offen
	s_nop 0
	buffer_load_dword v4, off, s[0:3], 0 offset:240
	buffer_load_dword v5, off, s[0:3], 0 offset:252
	;; [unrolled: 1-line block ×8, first 2 shown]
	v_cmp_gt_i32_e64 s[4:5], s28, v17
	s_and_b64 s[8:9], s[4:5], vcc
	s_and_b64 s[4:5], s[4:5], s[6:7]
	s_waitcnt vmcnt(8)
	v_cndmask_b32_e64 v1, 0, v1, s[8:9]
	s_waitcnt vmcnt(7)
	v_add_u16_e32 v4, v1, v4
	s_waitcnt vmcnt(6)
	v_add_u16_sdwa v5, v1, v5 dst_sel:DWORD dst_unused:UNUSED_PAD src0_sel:BYTE_3 src1_sel:DWORD
	s_waitcnt vmcnt(5)
	v_add_u16_sdwa v6, v1, v6 dst_sel:DWORD dst_unused:UNUSED_PAD src0_sel:WORD_1 src1_sel:DWORD
	s_waitcnt vmcnt(4)
	v_add_u16_sdwa v1, v1, v7 dst_sel:DWORD dst_unused:UNUSED_PAD src0_sel:BYTE_1 src1_sel:DWORD
	v_max_i16_sdwa v4, sext(v4), v38 dst_sel:DWORD dst_unused:UNUSED_PAD src0_sel:BYTE_0 src1_sel:DWORD
	v_max_i16_sdwa v1, sext(v1), v38 dst_sel:DWORD dst_unused:UNUSED_PAD src0_sel:BYTE_0 src1_sel:DWORD
	;; [unrolled: 1-line block ×4, first 2 shown]
	buffer_store_dword v4, off, s[0:3], 0 offset:240
	buffer_store_dword v5, off, s[0:3], 0 offset:252
	;; [unrolled: 1-line block ×4, first 2 shown]
	buffer_load_dword v1, v18, s[36:39], 0 offen
	s_waitcnt vmcnt(0)
	v_mad_u64_u32 v[4:5], s[8:9], s34, 61, v[0:1]
	v_cndmask_b32_e64 v0, 0, v1, s[4:5]
	v_add_u16_e32 v1, v0, v11
	v_add_u16_sdwa v5, v0, v14 dst_sel:DWORD dst_unused:UNUSED_PAD src0_sel:BYTE_3 src1_sel:DWORD
	v_add_u16_sdwa v6, v0, v13 dst_sel:DWORD dst_unused:UNUSED_PAD src0_sel:WORD_1 src1_sel:DWORD
	v_add_u16_sdwa v0, v0, v12 dst_sel:DWORD dst_unused:UNUSED_PAD src0_sel:BYTE_1 src1_sel:DWORD
	v_max_i16_sdwa v1, sext(v1), v38 dst_sel:DWORD dst_unused:UNUSED_PAD src0_sel:BYTE_0 src1_sel:DWORD
	v_max_i16_sdwa v0, sext(v0), v38 dst_sel:DWORD dst_unused:UNUSED_PAD src0_sel:BYTE_0 src1_sel:DWORD
	;; [unrolled: 1-line block ×4, first 2 shown]
	buffer_store_dword v1, off, s[0:3], 0 offset:256
	buffer_store_dword v5, off, s[0:3], 0 offset:268
	buffer_store_dword v6, off, s[0:3], 0 offset:264
	buffer_store_dword v0, off, s[0:3], 0 offset:260
	buffer_load_dword v1, v4, s[36:39], 0 offen
	s_nop 0
	buffer_load_dword v5, off, s[0:3], 0 offset:272
	buffer_load_dword v6, off, s[0:3], 0 offset:284
	;; [unrolled: 1-line block ×4, first 2 shown]
	v_add_u32_e32 v0, 64, v3
	v_cmp_gt_i32_e64 s[4:5], s28, v0
	s_and_b64 s[8:9], s[4:5], vcc
	v_add_u32_e32 v12, s10, v4
	buffer_load_dword v13, off, s[0:3], 0 offset:288
	buffer_load_dword v14, off, s[0:3], 0 offset:292
	;; [unrolled: 1-line block ×4, first 2 shown]
	s_and_b64 s[4:5], s[4:5], s[6:7]
	v_add_u32_e32 v4, s34, v4
	s_waitcnt vmcnt(8)
	v_cndmask_b32_e64 v1, 0, v1, s[8:9]
	s_waitcnt vmcnt(7)
	v_add_u16_e32 v5, v1, v5
	s_waitcnt vmcnt(6)
	v_add_u16_sdwa v6, v1, v6 dst_sel:DWORD dst_unused:UNUSED_PAD src0_sel:BYTE_3 src1_sel:DWORD
	s_waitcnt vmcnt(5)
	v_add_u16_sdwa v7, v1, v7 dst_sel:DWORD dst_unused:UNUSED_PAD src0_sel:WORD_1 src1_sel:DWORD
	s_waitcnt vmcnt(4)
	v_add_u16_sdwa v1, v1, v11 dst_sel:DWORD dst_unused:UNUSED_PAD src0_sel:BYTE_1 src1_sel:DWORD
	v_max_i16_sdwa v5, sext(v5), v38 dst_sel:DWORD dst_unused:UNUSED_PAD src0_sel:BYTE_0 src1_sel:DWORD
	v_max_i16_sdwa v1, sext(v1), v38 dst_sel:DWORD dst_unused:UNUSED_PAD src0_sel:BYTE_0 src1_sel:DWORD
	;; [unrolled: 1-line block ×4, first 2 shown]
	buffer_store_dword v5, off, s[0:3], 0 offset:272
	buffer_store_dword v6, off, s[0:3], 0 offset:284
	;; [unrolled: 1-line block ×4, first 2 shown]
	buffer_load_dword v1, v12, s[36:39], 0 offen
	v_add_u32_e32 v12, 0x41, v3
	s_waitcnt vmcnt(0)
	v_cndmask_b32_e64 v1, 0, v1, s[4:5]
	v_add_u16_e32 v5, v1, v13
	v_add_u16_sdwa v6, v1, v19 dst_sel:DWORD dst_unused:UNUSED_PAD src0_sel:BYTE_3 src1_sel:DWORD
	v_add_u16_sdwa v7, v1, v18 dst_sel:DWORD dst_unused:UNUSED_PAD src0_sel:WORD_1 src1_sel:DWORD
	v_add_u16_sdwa v1, v1, v14 dst_sel:DWORD dst_unused:UNUSED_PAD src0_sel:BYTE_1 src1_sel:DWORD
	v_max_i16_sdwa v5, sext(v5), v38 dst_sel:DWORD dst_unused:UNUSED_PAD src0_sel:BYTE_0 src1_sel:DWORD
	v_max_i16_sdwa v1, sext(v1), v38 dst_sel:DWORD dst_unused:UNUSED_PAD src0_sel:BYTE_0 src1_sel:DWORD
	;; [unrolled: 1-line block ×4, first 2 shown]
	buffer_store_dword v5, off, s[0:3], 0 offset:288
	buffer_store_dword v6, off, s[0:3], 0 offset:300
	buffer_store_dword v7, off, s[0:3], 0 offset:296
	buffer_store_dword v1, off, s[0:3], 0 offset:292
	buffer_load_dword v1, v4, s[36:39], 0 offen
	s_nop 0
	buffer_load_dword v5, off, s[0:3], 0 offset:304
	buffer_load_dword v6, off, s[0:3], 0 offset:316
	;; [unrolled: 1-line block ×4, first 2 shown]
	v_cmp_gt_i32_e64 s[4:5], s28, v12
	s_and_b64 s[8:9], s[4:5], vcc
	v_add_u32_e32 v13, s10, v4
	buffer_load_dword v14, off, s[0:3], 0 offset:320
	buffer_load_dword v18, off, s[0:3], 0 offset:324
	;; [unrolled: 1-line block ×4, first 2 shown]
	s_and_b64 s[4:5], s[4:5], s[6:7]
	v_add_u32_e32 v4, s34, v4
	s_waitcnt vmcnt(8)
	v_cndmask_b32_e64 v1, 0, v1, s[8:9]
	s_waitcnt vmcnt(7)
	v_add_u16_e32 v5, v1, v5
	s_waitcnt vmcnt(6)
	v_add_u16_sdwa v6, v1, v6 dst_sel:DWORD dst_unused:UNUSED_PAD src0_sel:BYTE_3 src1_sel:DWORD
	s_waitcnt vmcnt(5)
	v_add_u16_sdwa v7, v1, v7 dst_sel:DWORD dst_unused:UNUSED_PAD src0_sel:WORD_1 src1_sel:DWORD
	s_waitcnt vmcnt(4)
	v_add_u16_sdwa v1, v1, v11 dst_sel:DWORD dst_unused:UNUSED_PAD src0_sel:BYTE_1 src1_sel:DWORD
	v_max_i16_sdwa v5, sext(v5), v38 dst_sel:DWORD dst_unused:UNUSED_PAD src0_sel:BYTE_0 src1_sel:DWORD
	v_max_i16_sdwa v1, sext(v1), v38 dst_sel:DWORD dst_unused:UNUSED_PAD src0_sel:BYTE_0 src1_sel:DWORD
	;; [unrolled: 1-line block ×4, first 2 shown]
	buffer_store_dword v5, off, s[0:3], 0 offset:304
	buffer_store_dword v6, off, s[0:3], 0 offset:316
	;; [unrolled: 1-line block ×4, first 2 shown]
	buffer_load_dword v1, v13, s[36:39], 0 offen
	v_add_u32_e32 v13, 0x42, v3
	s_waitcnt vmcnt(0)
	v_cndmask_b32_e64 v1, 0, v1, s[4:5]
	v_add_u16_e32 v5, v1, v14
	v_add_u16_sdwa v6, v1, v20 dst_sel:DWORD dst_unused:UNUSED_PAD src0_sel:BYTE_3 src1_sel:DWORD
	v_add_u16_sdwa v7, v1, v19 dst_sel:DWORD dst_unused:UNUSED_PAD src0_sel:WORD_1 src1_sel:DWORD
	v_add_u16_sdwa v1, v1, v18 dst_sel:DWORD dst_unused:UNUSED_PAD src0_sel:BYTE_1 src1_sel:DWORD
	v_max_i16_sdwa v5, sext(v5), v38 dst_sel:DWORD dst_unused:UNUSED_PAD src0_sel:BYTE_0 src1_sel:DWORD
	v_max_i16_sdwa v1, sext(v1), v38 dst_sel:DWORD dst_unused:UNUSED_PAD src0_sel:BYTE_0 src1_sel:DWORD
	;; [unrolled: 1-line block ×4, first 2 shown]
	buffer_store_dword v5, off, s[0:3], 0 offset:320
	buffer_store_dword v6, off, s[0:3], 0 offset:332
	;; [unrolled: 1-line block ×4, first 2 shown]
	buffer_load_dword v1, v4, s[36:39], 0 offen
	s_nop 0
	buffer_load_dword v5, off, s[0:3], 0 offset:336
	buffer_load_dword v6, off, s[0:3], 0 offset:348
	buffer_load_dword v7, off, s[0:3], 0 offset:344
	buffer_load_dword v11, off, s[0:3], 0 offset:340
	v_cmp_gt_i32_e64 s[4:5], s28, v13
	s_and_b64 s[8:9], s[4:5], vcc
	v_add_u32_e32 v14, s10, v4
	buffer_load_dword v18, off, s[0:3], 0 offset:352
	buffer_load_dword v19, off, s[0:3], 0 offset:356
	;; [unrolled: 1-line block ×4, first 2 shown]
	s_and_b64 s[4:5], s[4:5], s[6:7]
	v_add_u32_e32 v4, s34, v4
	s_waitcnt vmcnt(8)
	v_cndmask_b32_e64 v1, 0, v1, s[8:9]
	s_waitcnt vmcnt(7)
	v_add_u16_e32 v5, v1, v5
	s_waitcnt vmcnt(6)
	v_add_u16_sdwa v6, v1, v6 dst_sel:DWORD dst_unused:UNUSED_PAD src0_sel:BYTE_3 src1_sel:DWORD
	s_waitcnt vmcnt(5)
	v_add_u16_sdwa v7, v1, v7 dst_sel:DWORD dst_unused:UNUSED_PAD src0_sel:WORD_1 src1_sel:DWORD
	s_waitcnt vmcnt(4)
	v_add_u16_sdwa v1, v1, v11 dst_sel:DWORD dst_unused:UNUSED_PAD src0_sel:BYTE_1 src1_sel:DWORD
	v_max_i16_sdwa v5, sext(v5), v38 dst_sel:DWORD dst_unused:UNUSED_PAD src0_sel:BYTE_0 src1_sel:DWORD
	v_max_i16_sdwa v1, sext(v1), v38 dst_sel:DWORD dst_unused:UNUSED_PAD src0_sel:BYTE_0 src1_sel:DWORD
	;; [unrolled: 1-line block ×4, first 2 shown]
	buffer_store_dword v5, off, s[0:3], 0 offset:336
	buffer_store_dword v6, off, s[0:3], 0 offset:348
	;; [unrolled: 1-line block ×4, first 2 shown]
	buffer_load_dword v1, v14, s[36:39], 0 offen
	v_cmp_gt_i32_e64 s[8:9], s33, v3
	s_waitcnt vmcnt(0)
	v_cndmask_b32_e64 v1, 0, v1, s[4:5]
	v_add_u16_e32 v5, v1, v18
	v_add_u16_sdwa v6, v1, v21 dst_sel:DWORD dst_unused:UNUSED_PAD src0_sel:BYTE_3 src1_sel:DWORD
	v_add_u16_sdwa v7, v1, v20 dst_sel:DWORD dst_unused:UNUSED_PAD src0_sel:WORD_1 src1_sel:DWORD
	v_add_u16_sdwa v1, v1, v19 dst_sel:DWORD dst_unused:UNUSED_PAD src0_sel:BYTE_1 src1_sel:DWORD
	v_max_i16_sdwa v5, sext(v5), v38 dst_sel:DWORD dst_unused:UNUSED_PAD src0_sel:BYTE_0 src1_sel:DWORD
	v_max_i16_sdwa v1, sext(v1), v38 dst_sel:DWORD dst_unused:UNUSED_PAD src0_sel:BYTE_0 src1_sel:DWORD
	;; [unrolled: 1-line block ×4, first 2 shown]
	buffer_store_dword v5, off, s[0:3], 0 offset:352
	buffer_store_dword v6, off, s[0:3], 0 offset:364
	;; [unrolled: 1-line block ×4, first 2 shown]
	buffer_load_dword v1, v4, s[36:39], 0 offen
	s_nop 0
	buffer_load_dword v5, off, s[0:3], 0 offset:368
	buffer_load_dword v6, off, s[0:3], 0 offset:380
	;; [unrolled: 1-line block ×6, first 2 shown]
	v_add_u32_e32 v19, 0x43, v3
	v_cmp_gt_i32_e64 s[4:5], s28, v19
	s_and_b64 vcc, s[4:5], vcc
	v_add_u32_e32 v4, s10, v4
	buffer_load_dword v20, off, s[0:3], 0 offset:384
	buffer_load_dword v21, off, s[0:3], 0 offset:388
	;; [unrolled: 1-line block ×4, first 2 shown]
	s_mov_b32 s10, 0xc0c0500
	s_and_b64 s[4:5], s[4:5], s[6:7]
	s_waitcnt vmcnt(10)
	v_cndmask_b32_e32 v1, 0, v1, vcc
	s_waitcnt vmcnt(9)
	v_add_u16_e32 v5, v1, v5
	s_waitcnt vmcnt(8)
	v_add_u16_sdwa v6, v1, v6 dst_sel:DWORD dst_unused:UNUSED_PAD src0_sel:BYTE_3 src1_sel:DWORD
	s_waitcnt vmcnt(7)
	v_add_u16_sdwa v7, v1, v7 dst_sel:DWORD dst_unused:UNUSED_PAD src0_sel:WORD_1 src1_sel:DWORD
	s_waitcnt vmcnt(6)
	v_add_u16_sdwa v1, v1, v11 dst_sel:DWORD dst_unused:UNUSED_PAD src0_sel:BYTE_1 src1_sel:DWORD
	v_max_i16_sdwa v5, sext(v5), v38 dst_sel:DWORD dst_unused:UNUSED_PAD src0_sel:BYTE_0 src1_sel:DWORD
	v_max_i16_sdwa v1, sext(v1), v38 dst_sel:DWORD dst_unused:UNUSED_PAD src0_sel:BYTE_0 src1_sel:DWORD
	v_max_i16_sdwa v7, sext(v7), v38 dst_sel:DWORD dst_unused:UNUSED_PAD src0_sel:BYTE_0 src1_sel:DWORD
	v_max_i16_sdwa v6, sext(v6), v38 dst_sel:DWORD dst_unused:UNUSED_PAD src0_sel:BYTE_0 src1_sel:DWORD
	buffer_store_dword v5, off, s[0:3], 0 offset:368
	buffer_store_dword v6, off, s[0:3], 0 offset:380
	;; [unrolled: 1-line block ×4, first 2 shown]
	buffer_load_dword v1, v4, s[36:39], 0 offen
	v_bfrev_b32_e32 v5, 1
	v_mul_lo_u32 v4, v3, s22
	v_cmp_gt_i32_e32 vcc, s14, v2
	v_mad_u64_u32 v[2:3], s[12:13], v2, s23, v[4:5]
	s_waitcnt vmcnt(10)
	v_lshlrev_b32_e32 v4, 8, v14
	s_waitcnt vmcnt(9)
	v_lshlrev_b32_e32 v6, 16, v18
	v_lshlrev_b32_e32 v7, 24, v10
	v_and_b32_e32 v6, 0xff0000, v6
	v_perm_b32 v4, v4, v9, s10
	s_and_b64 s[12:13], s[8:9], vcc
	v_or3_b32 v4, v4, v6, v7
	v_cndmask_b32_e64 v3, v5, 0, s[12:13]
	v_add_u32_e32 v3, v3, v2
	s_lshl_b32 s12, s22, 6
	s_waitcnt vmcnt(0)
	v_cndmask_b32_e64 v1, 0, v1, s[4:5]
	v_add_u16_e32 v6, v1, v20
	v_add_u16_sdwa v7, v1, v23 dst_sel:DWORD dst_unused:UNUSED_PAD src0_sel:BYTE_3 src1_sel:DWORD
	v_add_u16_sdwa v9, v1, v22 dst_sel:DWORD dst_unused:UNUSED_PAD src0_sel:WORD_1 src1_sel:DWORD
	v_add_u16_sdwa v1, v1, v21 dst_sel:DWORD dst_unused:UNUSED_PAD src0_sel:BYTE_1 src1_sel:DWORD
	v_max_i16_sdwa v6, sext(v6), v38 dst_sel:DWORD dst_unused:UNUSED_PAD src0_sel:BYTE_0 src1_sel:DWORD
	v_max_i16_sdwa v1, sext(v1), v38 dst_sel:DWORD dst_unused:UNUSED_PAD src0_sel:BYTE_0 src1_sel:DWORD
	v_max_i16_sdwa v9, sext(v9), v38 dst_sel:DWORD dst_unused:UNUSED_PAD src0_sel:BYTE_0 src1_sel:DWORD
	v_max_i16_sdwa v7, sext(v7), v38 dst_sel:DWORD dst_unused:UNUSED_PAD src0_sel:BYTE_0 src1_sel:DWORD
	buffer_store_dword v6, off, s[0:3], 0 offset:384
	buffer_store_dword v7, off, s[0:3], 0 offset:396
	;; [unrolled: 1-line block ×4, first 2 shown]
	buffer_store_dword v4, v3, s[24:27], 0 offen
	buffer_load_dword v1, off, s[0:3], 0 offset:164
	s_nop 0
	buffer_load_dword v3, off, s[0:3], 0 offset:168
	buffer_load_dword v4, off, s[0:3], 0 offset:172
	;; [unrolled: 1-line block ×3, first 2 shown]
	v_cmp_gt_i32_e64 s[4:5], s14, v8
	s_and_b64 s[6:7], s[8:9], s[4:5]
	v_add_u32_e32 v7, s11, v2
	v_cndmask_b32_e64 v8, v5, 0, s[6:7]
	v_add_u32_e32 v8, v8, v7
	v_cmp_gt_i32_e64 s[6:7], s33, v15
	s_and_b64 s[8:9], s[6:7], s[4:5]
	v_add_u32_e32 v7, s22, v7
	s_and_b64 s[6:7], s[6:7], vcc
	v_add_u32_e32 v2, s22, v2
	s_waitcnt vmcnt(3)
	v_lshlrev_b32_e32 v1, 8, v1
	s_waitcnt vmcnt(2)
	v_lshlrev_b32_e32 v3, 16, v3
	;; [unrolled: 2-line block ×3, first 2 shown]
	v_and_b32_e32 v3, 0xff0000, v3
	s_waitcnt vmcnt(0)
	v_perm_b32 v1, v1, v6, s10
	v_or3_b32 v1, v1, v3, v4
	buffer_store_dword v1, v8, s[24:27], 0 offen
	buffer_load_dword v1, off, s[0:3], 0 offset:196
	s_nop 0
	buffer_load_dword v3, off, s[0:3], 0 offset:200
	buffer_load_dword v4, off, s[0:3], 0 offset:204
	;; [unrolled: 1-line block ×3, first 2 shown]
	v_cndmask_b32_e64 v8, v5, 0, s[8:9]
	v_add_u32_e32 v8, v8, v7
	v_add_u32_e32 v7, s22, v7
	s_waitcnt vmcnt(3)
	v_lshlrev_b32_e32 v1, 8, v1
	s_waitcnt vmcnt(2)
	v_lshlrev_b32_e32 v3, 16, v3
	;; [unrolled: 2-line block ×3, first 2 shown]
	v_and_b32_e32 v3, 0xff0000, v3
	s_waitcnt vmcnt(0)
	v_perm_b32 v1, v1, v6, s10
	v_or3_b32 v1, v1, v3, v4
	buffer_store_dword v1, v8, s[24:27], 0 offen
	buffer_load_dword v1, off, s[0:3], 0 offset:180
	s_nop 0
	buffer_load_dword v3, off, s[0:3], 0 offset:184
	buffer_load_dword v4, off, s[0:3], 0 offset:188
	buffer_load_dword v6, off, s[0:3], 0 offset:176
	v_cndmask_b32_e64 v8, v5, 0, s[6:7]
	v_add_u32_e32 v8, v2, v8
	v_cmp_gt_i32_e64 s[6:7], s33, v16
	s_and_b64 s[8:9], s[6:7], vcc
	s_and_b64 s[6:7], s[6:7], s[4:5]
	s_waitcnt vmcnt(3)
	v_lshlrev_b32_e32 v1, 8, v1
	s_waitcnt vmcnt(2)
	v_lshlrev_b32_e32 v3, 16, v3
	;; [unrolled: 2-line block ×3, first 2 shown]
	v_and_b32_e32 v3, 0xff0000, v3
	s_waitcnt vmcnt(0)
	v_perm_b32 v1, v1, v6, s10
	v_or3_b32 v1, v1, v3, v4
	buffer_store_dword v1, v8, s[24:27], 0 offen
	buffer_load_dword v1, off, s[0:3], 0 offset:212
	s_nop 0
	buffer_load_dword v3, off, s[0:3], 0 offset:216
	buffer_load_dword v4, off, s[0:3], 0 offset:220
	;; [unrolled: 1-line block ×3, first 2 shown]
	v_cndmask_b32_e64 v8, v5, 0, s[8:9]
	v_add3_u32 v2, v8, s22, v2
	s_waitcnt vmcnt(3)
	v_lshlrev_b32_e32 v1, 8, v1
	s_waitcnt vmcnt(2)
	v_lshlrev_b32_e32 v3, 16, v3
	s_waitcnt vmcnt(1)
	v_lshlrev_b32_e32 v4, 24, v4
	v_and_b32_e32 v3, 0xff0000, v3
	s_waitcnt vmcnt(0)
	v_perm_b32 v1, v1, v6, s10
	v_or3_b32 v1, v1, v3, v4
	buffer_store_dword v1, v2, s[24:27], 0 offen
	buffer_load_dword v1, off, s[0:3], 0 offset:228
	s_nop 0
	buffer_load_dword v2, off, s[0:3], 0 offset:232
	buffer_load_dword v3, off, s[0:3], 0 offset:236
	;; [unrolled: 1-line block ×3, first 2 shown]
	v_cndmask_b32_e64 v6, v5, 0, s[6:7]
	v_add_u32_e32 v6, v7, v6
	v_cmp_gt_i32_e64 s[6:7], s33, v17
	s_and_b64 s[8:9], s[6:7], s[4:5]
	v_add_u32_e32 v7, s22, v7
	s_and_b64 s[6:7], s[6:7], vcc
	s_waitcnt vmcnt(3)
	v_lshlrev_b32_e32 v1, 8, v1
	s_waitcnt vmcnt(2)
	v_lshlrev_b32_e32 v2, 16, v2
	;; [unrolled: 2-line block ×3, first 2 shown]
	v_and_b32_e32 v2, 0xff0000, v2
	s_waitcnt vmcnt(0)
	v_perm_b32 v1, v1, v4, s10
	v_or3_b32 v1, v1, v2, v3
	buffer_store_dword v1, v6, s[24:27], 0 offen
	buffer_load_dword v1, off, s[0:3], 0 offset:260
	s_nop 0
	buffer_load_dword v2, off, s[0:3], 0 offset:264
	buffer_load_dword v3, off, s[0:3], 0 offset:268
	;; [unrolled: 1-line block ×3, first 2 shown]
	v_cndmask_b32_e64 v6, v5, 0, s[8:9]
	v_add_u32_e32 v6, v7, v6
	v_subrev_u32_e32 v7, s11, v7
	s_waitcnt vmcnt(3)
	v_lshlrev_b32_e32 v1, 8, v1
	s_waitcnt vmcnt(2)
	v_lshlrev_b32_e32 v2, 16, v2
	;; [unrolled: 2-line block ×3, first 2 shown]
	v_and_b32_e32 v2, 0xff0000, v2
	s_waitcnt vmcnt(0)
	v_perm_b32 v1, v1, v4, s10
	v_or3_b32 v1, v1, v2, v3
	buffer_store_dword v1, v6, s[24:27], 0 offen
	buffer_load_dword v1, off, s[0:3], 0 offset:244
	s_nop 0
	buffer_load_dword v2, off, s[0:3], 0 offset:248
	buffer_load_dword v3, off, s[0:3], 0 offset:252
	buffer_load_dword v4, off, s[0:3], 0 offset:240
	v_cndmask_b32_e64 v6, v5, 0, s[6:7]
	v_add_u32_e32 v6, v7, v6
	v_cmp_gt_i32_e64 s[6:7], s33, v19
	s_and_b64 s[8:9], s[6:7], vcc
	s_and_b64 s[6:7], s[6:7], s[4:5]
	s_waitcnt vmcnt(3)
	v_lshlrev_b32_e32 v1, 8, v1
	s_waitcnt vmcnt(2)
	v_lshlrev_b32_e32 v2, 16, v2
	;; [unrolled: 2-line block ×3, first 2 shown]
	v_and_b32_e32 v2, 0xff0000, v2
	s_waitcnt vmcnt(0)
	v_perm_b32 v1, v1, v4, s10
	v_or3_b32 v1, v1, v2, v3
	buffer_store_dword v1, v6, s[24:27], 0 offen
	buffer_load_dword v1, off, s[0:3], 0 offset:372
	s_nop 0
	buffer_load_dword v2, off, s[0:3], 0 offset:376
	buffer_load_dword v3, off, s[0:3], 0 offset:380
	;; [unrolled: 1-line block ×3, first 2 shown]
	v_cndmask_b32_e64 v6, v5, 0, s[8:9]
	v_add3_u32 v6, v6, s12, v7
	s_add_i32 s8, s23, s22
	v_lshl_add_u32 v7, s8, 6, v7
	s_waitcnt vmcnt(3)
	v_lshlrev_b32_e32 v1, 8, v1
	s_waitcnt vmcnt(2)
	v_lshlrev_b32_e32 v2, 16, v2
	;; [unrolled: 2-line block ×3, first 2 shown]
	v_and_b32_e32 v2, 0xff0000, v2
	s_waitcnt vmcnt(0)
	v_perm_b32 v1, v1, v4, s10
	v_or3_b32 v1, v1, v2, v3
	buffer_store_dword v1, v6, s[24:27], 0 offen
	buffer_load_dword v1, off, s[0:3], 0 offset:388
	s_nop 0
	buffer_load_dword v2, off, s[0:3], 0 offset:392
	buffer_load_dword v3, off, s[0:3], 0 offset:396
	;; [unrolled: 1-line block ×3, first 2 shown]
	v_cndmask_b32_e64 v6, v5, 0, s[6:7]
	v_add_u32_e32 v6, v7, v6
	v_cmp_ge_i32_e64 s[6:7], s33, v19
	s_and_b64 s[6:7], s[6:7], s[4:5]
	v_subrev_u32_e32 v7, s22, v7
	s_waitcnt vmcnt(3)
	v_lshlrev_b32_e32 v1, 8, v1
	s_waitcnt vmcnt(2)
	v_lshlrev_b32_e32 v2, 16, v2
	;; [unrolled: 2-line block ×3, first 2 shown]
	v_and_b32_e32 v2, 0xff0000, v2
	s_waitcnt vmcnt(0)
	v_perm_b32 v1, v1, v4, s10
	v_or3_b32 v1, v1, v2, v3
	buffer_store_dword v1, v6, s[24:27], 0 offen
	buffer_load_dword v1, off, s[0:3], 0 offset:356
	s_nop 0
	buffer_load_dword v2, off, s[0:3], 0 offset:360
	buffer_load_dword v3, off, s[0:3], 0 offset:364
	;; [unrolled: 1-line block ×3, first 2 shown]
	v_cndmask_b32_e64 v6, v5, 0, s[6:7]
	v_add_u32_e32 v6, v7, v6
	v_cmp_gt_i32_e64 s[6:7], s33, v13
	s_and_b64 s[6:7], s[6:7], vcc
	v_subrev_u32_e32 v7, s11, v7
	s_waitcnt vmcnt(3)
	v_lshlrev_b32_e32 v1, 8, v1
	s_waitcnt vmcnt(2)
	v_lshlrev_b32_e32 v2, 16, v2
	s_waitcnt vmcnt(1)
	v_lshlrev_b32_e32 v3, 24, v3
	v_and_b32_e32 v2, 0xff0000, v2
	s_waitcnt vmcnt(0)
	v_perm_b32 v1, v1, v4, s10
	v_or3_b32 v1, v1, v2, v3
	buffer_store_dword v1, v6, s[24:27], 0 offen
	buffer_load_dword v1, off, s[0:3], 0 offset:340
	s_nop 0
	buffer_load_dword v2, off, s[0:3], 0 offset:344
	buffer_load_dword v3, off, s[0:3], 0 offset:348
	;; [unrolled: 1-line block ×3, first 2 shown]
	v_cndmask_b32_e64 v6, v5, 0, s[6:7]
	v_add_u32_e32 v6, v7, v6
	v_cmp_ge_i32_e64 s[6:7], s33, v13
	s_and_b64 s[6:7], s[6:7], vcc
	v_subrev_u32_e32 v7, s22, v7
	s_waitcnt vmcnt(3)
	v_lshlrev_b32_e32 v1, 8, v1
	s_waitcnt vmcnt(2)
	v_lshlrev_b32_e32 v2, 16, v2
	;; [unrolled: 2-line block ×3, first 2 shown]
	v_and_b32_e32 v2, 0xff0000, v2
	s_waitcnt vmcnt(0)
	v_perm_b32 v1, v1, v4, s10
	v_or3_b32 v1, v1, v2, v3
	buffer_store_dword v1, v6, s[24:27], 0 offen
	buffer_load_dword v1, off, s[0:3], 0 offset:308
	s_nop 0
	buffer_load_dword v2, off, s[0:3], 0 offset:312
	buffer_load_dword v3, off, s[0:3], 0 offset:316
	buffer_load_dword v4, off, s[0:3], 0 offset:304
	v_cndmask_b32_e64 v6, v5, 0, s[6:7]
	v_add_u32_e32 v6, v7, v6
	v_cmp_gt_i32_e64 s[6:7], s33, v12
	s_and_b64 s[6:7], s[6:7], s[4:5]
	v_add_u32_e32 v7, s11, v7
	s_waitcnt vmcnt(3)
	v_lshlrev_b32_e32 v1, 8, v1
	s_waitcnt vmcnt(2)
	v_lshlrev_b32_e32 v2, 16, v2
	;; [unrolled: 2-line block ×3, first 2 shown]
	v_and_b32_e32 v2, 0xff0000, v2
	s_waitcnt vmcnt(0)
	v_perm_b32 v1, v1, v4, s10
	v_or3_b32 v1, v1, v2, v3
	buffer_store_dword v1, v6, s[24:27], 0 offen
	buffer_load_dword v1, off, s[0:3], 0 offset:324
	s_nop 0
	buffer_load_dword v2, off, s[0:3], 0 offset:328
	buffer_load_dword v3, off, s[0:3], 0 offset:332
	buffer_load_dword v4, off, s[0:3], 0 offset:320
	v_cndmask_b32_e64 v6, v5, 0, s[6:7]
	v_add_u32_e32 v6, v7, v6
	v_cmp_ge_i32_e64 s[6:7], s33, v12
	s_and_b64 s[4:5], s[6:7], s[4:5]
	v_subrev_u32_e32 v7, s22, v7
	s_waitcnt vmcnt(3)
	v_lshlrev_b32_e32 v1, 8, v1
	s_waitcnt vmcnt(2)
	v_lshlrev_b32_e32 v2, 16, v2
	;; [unrolled: 2-line block ×3, first 2 shown]
	v_and_b32_e32 v2, 0xff0000, v2
	s_waitcnt vmcnt(0)
	v_perm_b32 v1, v1, v4, s10
	v_or3_b32 v1, v1, v2, v3
	buffer_store_dword v1, v6, s[24:27], 0 offen
	buffer_load_dword v1, off, s[0:3], 0 offset:292
	s_nop 0
	buffer_load_dword v2, off, s[0:3], 0 offset:296
	buffer_load_dword v3, off, s[0:3], 0 offset:300
	;; [unrolled: 1-line block ×3, first 2 shown]
	v_cndmask_b32_e64 v6, v5, 0, s[4:5]
	v_add_u32_e32 v6, v7, v6
	v_cmp_gt_i32_e64 s[4:5], s33, v0
	s_and_b64 s[4:5], s[4:5], vcc
	v_cndmask_b32_e64 v0, v5, 0, s[4:5]
	v_subrev_u32_e32 v0, s11, v0
	v_add_u32_e32 v0, v0, v7
	s_waitcnt vmcnt(3)
	v_lshlrev_b32_e32 v1, 8, v1
	s_waitcnt vmcnt(2)
	v_lshlrev_b32_e32 v2, 16, v2
	;; [unrolled: 2-line block ×3, first 2 shown]
	v_and_b32_e32 v2, 0xff0000, v2
	s_waitcnt vmcnt(0)
	v_perm_b32 v1, v1, v4, s10
	v_or3_b32 v1, v1, v2, v3
	buffer_store_dword v1, v6, s[24:27], 0 offen
	buffer_load_dword v1, off, s[0:3], 0 offset:276
	s_nop 0
	buffer_load_dword v2, off, s[0:3], 0 offset:280
	buffer_load_dword v3, off, s[0:3], 0 offset:284
	;; [unrolled: 1-line block ×3, first 2 shown]
	s_waitcnt vmcnt(3)
	v_lshlrev_b32_e32 v1, 8, v1
	s_waitcnt vmcnt(2)
	v_lshlrev_b32_e32 v2, 16, v2
	;; [unrolled: 2-line block ×3, first 2 shown]
	v_and_b32_e32 v2, 0xff0000, v2
	s_waitcnt vmcnt(0)
	v_perm_b32 v1, v1, v4, s10
	v_or3_b32 v1, v1, v2, v3
	buffer_store_dword v1, v0, s[24:27], 0 offen
	s_endpgm
	.section	.rodata,"a",@progbits
	.p2align	6, 0x0
	.amdhsa_kernel _ZN2ck16tensor_operation6device12_GLOBAL__N_137kernel_grouped_conv_fwd_dl_multiple_dINS_32GridwiseGemmDlMultipleD_km_kn_mnILi256EaiNS_5TupleIJaEEEaNS0_12element_wise11PassThroughES8_NS7_7AddReluELNS_25InMemoryDataOperationEnumE0ENS_16TensorDescriptorINS5_IJNS_5EmbedINS5_IJiiiiEEESD_Lb0EEENS_11PassThroughIiEENS_3PadIiiiLb0EEESI_SG_SG_NSC_INS5_IJiiEEESJ_Lb0EEESK_SG_NS_23Merge_v2_magic_divisionINS5_IJiiiEEEEESN_NS_8RightPadIiiLb0EEESP_NS_7UnMergeISJ_Lb0EEESG_EEENS5_IJNS_8SequenceIJLi0EEEENST_IJLi1EEEENST_IJLi2EEEENST_IJLi3EEEENST_IJLi4EEEENST_IJLi5EEEENST_IJLi6EEEENST_IJLi7EEEENST_IJLi8EEEENST_IJLi9ELi11ELi13EEEENST_IJLi10ELi12ELi14EEEENST_IJLi15EEEENST_IJLi16EEEENST_IJLi18EEEENST_IJLi17EEEEEEENS5_IJNST_IJLi1ELi2ELi3ELi4EEEESZ_S10_S11_S12_NST_IJLi9EEEENST_IJLi10ELi11EEEENST_IJLi12ELi13EEEENST_IJLi14EEEES15_S16_S18_S17_NST_IJLi19ELi20EEEENST_IJLi21EEEEEEENST_IJLi19ELi21ELi20EEEElEENSB_INS5_IJSR_SP_SP_SR_SG_EEENS5_IJSU_SV_SW_SY_SX_EEENS5_IJNST_IJLi1ELi2EEEESX_SY_NST_IJLi5ELi6EEEES11_EEENST_IJLi5ELi7ELi6EEEElEENSB_INS5_IJSK_SP_SP_EEENS5_IJSU_SV_SW_EEENS5_IJS1M_SX_SY_EEENST_IJLi3ELi4EEEElEELi128ELi128ELi16ELi4ELi4ELi4ELi1ENST_IJLi8ELi2EEEES1W_NST_IJLi8ELi1ELi1ELi4EEEENST_IJLi2ELi1ELi128ELi1EEEENST_IJLi1ELi2ELi0ELi3EEEES1Z_NST_IJLi4ELi1ELi1ELi4EEEES1Z_NST_IJLi1ELi1ELi1ELi4EEEES1X_S1Y_S1Z_S1Z_S20_S1Z_S21_NST_IJLi0ELi1ELi2ELi3ELi4ELi5EEEELi5ELi4EEEaNS5_IJPKaEEEaS8_S8_S9_NSB_INS5_IJSE_SG_SI_SI_SG_SG_SK_SK_SG_SN_SN_SP_SP_SR_SG_SG_NSQ_INS5_IJiNS_17integral_constantIiLi128EEEEEELb0EEENSF_INS27_IiLi4EEEEEEEENS5_IJSU_SV_SW_SX_SY_SZ_S10_S11_S12_S13_S14_S15_S16_S17_S18_NST_IJLi19EEEES1G_NST_IJLi20EEEEEEENS5_IJS1A_SZ_S10_S11_S12_S1B_S1C_S1D_S1E_S15_S16_S18_S17_S1F_S1G_NST_IJLi22EEEENST_IJLi23ELi24EEEENST_IJLi25EEEEEEENST_IJLi22ELi23ELi24ELi25EEEElEENSB_INS5_IJSR_SP_SP_SR_SG_SG_S2A_S2C_EEENS5_IJSU_SV_SW_SY_SX_SZ_S11_S10_EEENS5_IJS1M_SX_SY_S1N_S11_S12_NST_IJLi9ELi10EEEENST_IJLi11EEEEEEENST_IJLi8ELi9ELi10ELi11EEEElEENS5_IJNSB_INS5_IJSK_SP_SP_NSQ_INS5_IJiNS27_IiLi2EEENS27_IiLi64EEEEEELb0EEES2X_EEENS5_IJSU_SV_SW_SX_SY_EEENS5_IJS1M_SX_SY_NST_IJLi5ELi6ELi7EEEENST_IJLi8ELi9ELi10EEEEEEENST_IJLi5ELi6ELi7ELi8ELi9ELi10EEEElEEEEES34_NS_31BlockToCTileMap_M00_N00_M01_N01ILi128ELi128ES1V_Lb0EEENS1_30ComputePtrOffsetOfStridedBatchILi1ELi1ELi1EvEELb1ELb1EEEvPKT0_S3C_T1_PT2_T3_T4_T5_iT6_T7_T8_T9_T10_T11_
		.amdhsa_group_segment_fixed_size 32768
		.amdhsa_private_segment_fixed_size 480
		.amdhsa_kernarg_size 968
		.amdhsa_user_sgpr_count 8
		.amdhsa_user_sgpr_private_segment_buffer 1
		.amdhsa_user_sgpr_dispatch_ptr 0
		.amdhsa_user_sgpr_queue_ptr 0
		.amdhsa_user_sgpr_kernarg_segment_ptr 1
		.amdhsa_user_sgpr_dispatch_id 0
		.amdhsa_user_sgpr_flat_scratch_init 1
		.amdhsa_user_sgpr_kernarg_preload_length 0
		.amdhsa_user_sgpr_kernarg_preload_offset 0
		.amdhsa_user_sgpr_private_segment_size 0
		.amdhsa_uses_dynamic_stack 0
		.amdhsa_system_sgpr_private_segment_wavefront_offset 1
		.amdhsa_system_sgpr_workgroup_id_x 1
		.amdhsa_system_sgpr_workgroup_id_y 0
		.amdhsa_system_sgpr_workgroup_id_z 0
		.amdhsa_system_sgpr_workgroup_info 0
		.amdhsa_system_vgpr_workitem_id 0
		.amdhsa_next_free_vgpr 90
		.amdhsa_next_free_sgpr 100
		.amdhsa_accum_offset 92
		.amdhsa_reserve_vcc 1
		.amdhsa_reserve_flat_scratch 1
		.amdhsa_float_round_mode_32 0
		.amdhsa_float_round_mode_16_64 0
		.amdhsa_float_denorm_mode_32 3
		.amdhsa_float_denorm_mode_16_64 3
		.amdhsa_dx10_clamp 1
		.amdhsa_ieee_mode 1
		.amdhsa_fp16_overflow 0
		.amdhsa_tg_split 0
		.amdhsa_exception_fp_ieee_invalid_op 0
		.amdhsa_exception_fp_denorm_src 0
		.amdhsa_exception_fp_ieee_div_zero 0
		.amdhsa_exception_fp_ieee_overflow 0
		.amdhsa_exception_fp_ieee_underflow 0
		.amdhsa_exception_fp_ieee_inexact 0
		.amdhsa_exception_int_div_zero 0
	.end_amdhsa_kernel
	.section	.text._ZN2ck16tensor_operation6device12_GLOBAL__N_137kernel_grouped_conv_fwd_dl_multiple_dINS_32GridwiseGemmDlMultipleD_km_kn_mnILi256EaiNS_5TupleIJaEEEaNS0_12element_wise11PassThroughES8_NS7_7AddReluELNS_25InMemoryDataOperationEnumE0ENS_16TensorDescriptorINS5_IJNS_5EmbedINS5_IJiiiiEEESD_Lb0EEENS_11PassThroughIiEENS_3PadIiiiLb0EEESI_SG_SG_NSC_INS5_IJiiEEESJ_Lb0EEESK_SG_NS_23Merge_v2_magic_divisionINS5_IJiiiEEEEESN_NS_8RightPadIiiLb0EEESP_NS_7UnMergeISJ_Lb0EEESG_EEENS5_IJNS_8SequenceIJLi0EEEENST_IJLi1EEEENST_IJLi2EEEENST_IJLi3EEEENST_IJLi4EEEENST_IJLi5EEEENST_IJLi6EEEENST_IJLi7EEEENST_IJLi8EEEENST_IJLi9ELi11ELi13EEEENST_IJLi10ELi12ELi14EEEENST_IJLi15EEEENST_IJLi16EEEENST_IJLi18EEEENST_IJLi17EEEEEEENS5_IJNST_IJLi1ELi2ELi3ELi4EEEESZ_S10_S11_S12_NST_IJLi9EEEENST_IJLi10ELi11EEEENST_IJLi12ELi13EEEENST_IJLi14EEEES15_S16_S18_S17_NST_IJLi19ELi20EEEENST_IJLi21EEEEEEENST_IJLi19ELi21ELi20EEEElEENSB_INS5_IJSR_SP_SP_SR_SG_EEENS5_IJSU_SV_SW_SY_SX_EEENS5_IJNST_IJLi1ELi2EEEESX_SY_NST_IJLi5ELi6EEEES11_EEENST_IJLi5ELi7ELi6EEEElEENSB_INS5_IJSK_SP_SP_EEENS5_IJSU_SV_SW_EEENS5_IJS1M_SX_SY_EEENST_IJLi3ELi4EEEElEELi128ELi128ELi16ELi4ELi4ELi4ELi1ENST_IJLi8ELi2EEEES1W_NST_IJLi8ELi1ELi1ELi4EEEENST_IJLi2ELi1ELi128ELi1EEEENST_IJLi1ELi2ELi0ELi3EEEES1Z_NST_IJLi4ELi1ELi1ELi4EEEES1Z_NST_IJLi1ELi1ELi1ELi4EEEES1X_S1Y_S1Z_S1Z_S20_S1Z_S21_NST_IJLi0ELi1ELi2ELi3ELi4ELi5EEEELi5ELi4EEEaNS5_IJPKaEEEaS8_S8_S9_NSB_INS5_IJSE_SG_SI_SI_SG_SG_SK_SK_SG_SN_SN_SP_SP_SR_SG_SG_NSQ_INS5_IJiNS_17integral_constantIiLi128EEEEEELb0EEENSF_INS27_IiLi4EEEEEEEENS5_IJSU_SV_SW_SX_SY_SZ_S10_S11_S12_S13_S14_S15_S16_S17_S18_NST_IJLi19EEEES1G_NST_IJLi20EEEEEEENS5_IJS1A_SZ_S10_S11_S12_S1B_S1C_S1D_S1E_S15_S16_S18_S17_S1F_S1G_NST_IJLi22EEEENST_IJLi23ELi24EEEENST_IJLi25EEEEEEENST_IJLi22ELi23ELi24ELi25EEEElEENSB_INS5_IJSR_SP_SP_SR_SG_SG_S2A_S2C_EEENS5_IJSU_SV_SW_SY_SX_SZ_S11_S10_EEENS5_IJS1M_SX_SY_S1N_S11_S12_NST_IJLi9ELi10EEEENST_IJLi11EEEEEEENST_IJLi8ELi9ELi10ELi11EEEElEENS5_IJNSB_INS5_IJSK_SP_SP_NSQ_INS5_IJiNS27_IiLi2EEENS27_IiLi64EEEEEELb0EEES2X_EEENS5_IJSU_SV_SW_SX_SY_EEENS5_IJS1M_SX_SY_NST_IJLi5ELi6ELi7EEEENST_IJLi8ELi9ELi10EEEEEEENST_IJLi5ELi6ELi7ELi8ELi9ELi10EEEElEEEEES34_NS_31BlockToCTileMap_M00_N00_M01_N01ILi128ELi128ES1V_Lb0EEENS1_30ComputePtrOffsetOfStridedBatchILi1ELi1ELi1EvEELb1ELb1EEEvPKT0_S3C_T1_PT2_T3_T4_T5_iT6_T7_T8_T9_T10_T11_,"axG",@progbits,_ZN2ck16tensor_operation6device12_GLOBAL__N_137kernel_grouped_conv_fwd_dl_multiple_dINS_32GridwiseGemmDlMultipleD_km_kn_mnILi256EaiNS_5TupleIJaEEEaNS0_12element_wise11PassThroughES8_NS7_7AddReluELNS_25InMemoryDataOperationEnumE0ENS_16TensorDescriptorINS5_IJNS_5EmbedINS5_IJiiiiEEESD_Lb0EEENS_11PassThroughIiEENS_3PadIiiiLb0EEESI_SG_SG_NSC_INS5_IJiiEEESJ_Lb0EEESK_SG_NS_23Merge_v2_magic_divisionINS5_IJiiiEEEEESN_NS_8RightPadIiiLb0EEESP_NS_7UnMergeISJ_Lb0EEESG_EEENS5_IJNS_8SequenceIJLi0EEEENST_IJLi1EEEENST_IJLi2EEEENST_IJLi3EEEENST_IJLi4EEEENST_IJLi5EEEENST_IJLi6EEEENST_IJLi7EEEENST_IJLi8EEEENST_IJLi9ELi11ELi13EEEENST_IJLi10ELi12ELi14EEEENST_IJLi15EEEENST_IJLi16EEEENST_IJLi18EEEENST_IJLi17EEEEEEENS5_IJNST_IJLi1ELi2ELi3ELi4EEEESZ_S10_S11_S12_NST_IJLi9EEEENST_IJLi10ELi11EEEENST_IJLi12ELi13EEEENST_IJLi14EEEES15_S16_S18_S17_NST_IJLi19ELi20EEEENST_IJLi21EEEEEEENST_IJLi19ELi21ELi20EEEElEENSB_INS5_IJSR_SP_SP_SR_SG_EEENS5_IJSU_SV_SW_SY_SX_EEENS5_IJNST_IJLi1ELi2EEEESX_SY_NST_IJLi5ELi6EEEES11_EEENST_IJLi5ELi7ELi6EEEElEENSB_INS5_IJSK_SP_SP_EEENS5_IJSU_SV_SW_EEENS5_IJS1M_SX_SY_EEENST_IJLi3ELi4EEEElEELi128ELi128ELi16ELi4ELi4ELi4ELi1ENST_IJLi8ELi2EEEES1W_NST_IJLi8ELi1ELi1ELi4EEEENST_IJLi2ELi1ELi128ELi1EEEENST_IJLi1ELi2ELi0ELi3EEEES1Z_NST_IJLi4ELi1ELi1ELi4EEEES1Z_NST_IJLi1ELi1ELi1ELi4EEEES1X_S1Y_S1Z_S1Z_S20_S1Z_S21_NST_IJLi0ELi1ELi2ELi3ELi4ELi5EEEELi5ELi4EEEaNS5_IJPKaEEEaS8_S8_S9_NSB_INS5_IJSE_SG_SI_SI_SG_SG_SK_SK_SG_SN_SN_SP_SP_SR_SG_SG_NSQ_INS5_IJiNS_17integral_constantIiLi128EEEEEELb0EEENSF_INS27_IiLi4EEEEEEEENS5_IJSU_SV_SW_SX_SY_SZ_S10_S11_S12_S13_S14_S15_S16_S17_S18_NST_IJLi19EEEES1G_NST_IJLi20EEEEEEENS5_IJS1A_SZ_S10_S11_S12_S1B_S1C_S1D_S1E_S15_S16_S18_S17_S1F_S1G_NST_IJLi22EEEENST_IJLi23ELi24EEEENST_IJLi25EEEEEEENST_IJLi22ELi23ELi24ELi25EEEElEENSB_INS5_IJSR_SP_SP_SR_SG_SG_S2A_S2C_EEENS5_IJSU_SV_SW_SY_SX_SZ_S11_S10_EEENS5_IJS1M_SX_SY_S1N_S11_S12_NST_IJLi9ELi10EEEENST_IJLi11EEEEEEENST_IJLi8ELi9ELi10ELi11EEEElEENS5_IJNSB_INS5_IJSK_SP_SP_NSQ_INS5_IJiNS27_IiLi2EEENS27_IiLi64EEEEEELb0EEES2X_EEENS5_IJSU_SV_SW_SX_SY_EEENS5_IJS1M_SX_SY_NST_IJLi5ELi6ELi7EEEENST_IJLi8ELi9ELi10EEEEEEENST_IJLi5ELi6ELi7ELi8ELi9ELi10EEEElEEEEES34_NS_31BlockToCTileMap_M00_N00_M01_N01ILi128ELi128ES1V_Lb0EEENS1_30ComputePtrOffsetOfStridedBatchILi1ELi1ELi1EvEELb1ELb1EEEvPKT0_S3C_T1_PT2_T3_T4_T5_iT6_T7_T8_T9_T10_T11_,comdat
.Lfunc_end6:
	.size	_ZN2ck16tensor_operation6device12_GLOBAL__N_137kernel_grouped_conv_fwd_dl_multiple_dINS_32GridwiseGemmDlMultipleD_km_kn_mnILi256EaiNS_5TupleIJaEEEaNS0_12element_wise11PassThroughES8_NS7_7AddReluELNS_25InMemoryDataOperationEnumE0ENS_16TensorDescriptorINS5_IJNS_5EmbedINS5_IJiiiiEEESD_Lb0EEENS_11PassThroughIiEENS_3PadIiiiLb0EEESI_SG_SG_NSC_INS5_IJiiEEESJ_Lb0EEESK_SG_NS_23Merge_v2_magic_divisionINS5_IJiiiEEEEESN_NS_8RightPadIiiLb0EEESP_NS_7UnMergeISJ_Lb0EEESG_EEENS5_IJNS_8SequenceIJLi0EEEENST_IJLi1EEEENST_IJLi2EEEENST_IJLi3EEEENST_IJLi4EEEENST_IJLi5EEEENST_IJLi6EEEENST_IJLi7EEEENST_IJLi8EEEENST_IJLi9ELi11ELi13EEEENST_IJLi10ELi12ELi14EEEENST_IJLi15EEEENST_IJLi16EEEENST_IJLi18EEEENST_IJLi17EEEEEEENS5_IJNST_IJLi1ELi2ELi3ELi4EEEESZ_S10_S11_S12_NST_IJLi9EEEENST_IJLi10ELi11EEEENST_IJLi12ELi13EEEENST_IJLi14EEEES15_S16_S18_S17_NST_IJLi19ELi20EEEENST_IJLi21EEEEEEENST_IJLi19ELi21ELi20EEEElEENSB_INS5_IJSR_SP_SP_SR_SG_EEENS5_IJSU_SV_SW_SY_SX_EEENS5_IJNST_IJLi1ELi2EEEESX_SY_NST_IJLi5ELi6EEEES11_EEENST_IJLi5ELi7ELi6EEEElEENSB_INS5_IJSK_SP_SP_EEENS5_IJSU_SV_SW_EEENS5_IJS1M_SX_SY_EEENST_IJLi3ELi4EEEElEELi128ELi128ELi16ELi4ELi4ELi4ELi1ENST_IJLi8ELi2EEEES1W_NST_IJLi8ELi1ELi1ELi4EEEENST_IJLi2ELi1ELi128ELi1EEEENST_IJLi1ELi2ELi0ELi3EEEES1Z_NST_IJLi4ELi1ELi1ELi4EEEES1Z_NST_IJLi1ELi1ELi1ELi4EEEES1X_S1Y_S1Z_S1Z_S20_S1Z_S21_NST_IJLi0ELi1ELi2ELi3ELi4ELi5EEEELi5ELi4EEEaNS5_IJPKaEEEaS8_S8_S9_NSB_INS5_IJSE_SG_SI_SI_SG_SG_SK_SK_SG_SN_SN_SP_SP_SR_SG_SG_NSQ_INS5_IJiNS_17integral_constantIiLi128EEEEEELb0EEENSF_INS27_IiLi4EEEEEEEENS5_IJSU_SV_SW_SX_SY_SZ_S10_S11_S12_S13_S14_S15_S16_S17_S18_NST_IJLi19EEEES1G_NST_IJLi20EEEEEEENS5_IJS1A_SZ_S10_S11_S12_S1B_S1C_S1D_S1E_S15_S16_S18_S17_S1F_S1G_NST_IJLi22EEEENST_IJLi23ELi24EEEENST_IJLi25EEEEEEENST_IJLi22ELi23ELi24ELi25EEEElEENSB_INS5_IJSR_SP_SP_SR_SG_SG_S2A_S2C_EEENS5_IJSU_SV_SW_SY_SX_SZ_S11_S10_EEENS5_IJS1M_SX_SY_S1N_S11_S12_NST_IJLi9ELi10EEEENST_IJLi11EEEEEEENST_IJLi8ELi9ELi10ELi11EEEElEENS5_IJNSB_INS5_IJSK_SP_SP_NSQ_INS5_IJiNS27_IiLi2EEENS27_IiLi64EEEEEELb0EEES2X_EEENS5_IJSU_SV_SW_SX_SY_EEENS5_IJS1M_SX_SY_NST_IJLi5ELi6ELi7EEEENST_IJLi8ELi9ELi10EEEEEEENST_IJLi5ELi6ELi7ELi8ELi9ELi10EEEElEEEEES34_NS_31BlockToCTileMap_M00_N00_M01_N01ILi128ELi128ES1V_Lb0EEENS1_30ComputePtrOffsetOfStridedBatchILi1ELi1ELi1EvEELb1ELb1EEEvPKT0_S3C_T1_PT2_T3_T4_T5_iT6_T7_T8_T9_T10_T11_, .Lfunc_end6-_ZN2ck16tensor_operation6device12_GLOBAL__N_137kernel_grouped_conv_fwd_dl_multiple_dINS_32GridwiseGemmDlMultipleD_km_kn_mnILi256EaiNS_5TupleIJaEEEaNS0_12element_wise11PassThroughES8_NS7_7AddReluELNS_25InMemoryDataOperationEnumE0ENS_16TensorDescriptorINS5_IJNS_5EmbedINS5_IJiiiiEEESD_Lb0EEENS_11PassThroughIiEENS_3PadIiiiLb0EEESI_SG_SG_NSC_INS5_IJiiEEESJ_Lb0EEESK_SG_NS_23Merge_v2_magic_divisionINS5_IJiiiEEEEESN_NS_8RightPadIiiLb0EEESP_NS_7UnMergeISJ_Lb0EEESG_EEENS5_IJNS_8SequenceIJLi0EEEENST_IJLi1EEEENST_IJLi2EEEENST_IJLi3EEEENST_IJLi4EEEENST_IJLi5EEEENST_IJLi6EEEENST_IJLi7EEEENST_IJLi8EEEENST_IJLi9ELi11ELi13EEEENST_IJLi10ELi12ELi14EEEENST_IJLi15EEEENST_IJLi16EEEENST_IJLi18EEEENST_IJLi17EEEEEEENS5_IJNST_IJLi1ELi2ELi3ELi4EEEESZ_S10_S11_S12_NST_IJLi9EEEENST_IJLi10ELi11EEEENST_IJLi12ELi13EEEENST_IJLi14EEEES15_S16_S18_S17_NST_IJLi19ELi20EEEENST_IJLi21EEEEEEENST_IJLi19ELi21ELi20EEEElEENSB_INS5_IJSR_SP_SP_SR_SG_EEENS5_IJSU_SV_SW_SY_SX_EEENS5_IJNST_IJLi1ELi2EEEESX_SY_NST_IJLi5ELi6EEEES11_EEENST_IJLi5ELi7ELi6EEEElEENSB_INS5_IJSK_SP_SP_EEENS5_IJSU_SV_SW_EEENS5_IJS1M_SX_SY_EEENST_IJLi3ELi4EEEElEELi128ELi128ELi16ELi4ELi4ELi4ELi1ENST_IJLi8ELi2EEEES1W_NST_IJLi8ELi1ELi1ELi4EEEENST_IJLi2ELi1ELi128ELi1EEEENST_IJLi1ELi2ELi0ELi3EEEES1Z_NST_IJLi4ELi1ELi1ELi4EEEES1Z_NST_IJLi1ELi1ELi1ELi4EEEES1X_S1Y_S1Z_S1Z_S20_S1Z_S21_NST_IJLi0ELi1ELi2ELi3ELi4ELi5EEEELi5ELi4EEEaNS5_IJPKaEEEaS8_S8_S9_NSB_INS5_IJSE_SG_SI_SI_SG_SG_SK_SK_SG_SN_SN_SP_SP_SR_SG_SG_NSQ_INS5_IJiNS_17integral_constantIiLi128EEEEEELb0EEENSF_INS27_IiLi4EEEEEEEENS5_IJSU_SV_SW_SX_SY_SZ_S10_S11_S12_S13_S14_S15_S16_S17_S18_NST_IJLi19EEEES1G_NST_IJLi20EEEEEEENS5_IJS1A_SZ_S10_S11_S12_S1B_S1C_S1D_S1E_S15_S16_S18_S17_S1F_S1G_NST_IJLi22EEEENST_IJLi23ELi24EEEENST_IJLi25EEEEEEENST_IJLi22ELi23ELi24ELi25EEEElEENSB_INS5_IJSR_SP_SP_SR_SG_SG_S2A_S2C_EEENS5_IJSU_SV_SW_SY_SX_SZ_S11_S10_EEENS5_IJS1M_SX_SY_S1N_S11_S12_NST_IJLi9ELi10EEEENST_IJLi11EEEEEEENST_IJLi8ELi9ELi10ELi11EEEElEENS5_IJNSB_INS5_IJSK_SP_SP_NSQ_INS5_IJiNS27_IiLi2EEENS27_IiLi64EEEEEELb0EEES2X_EEENS5_IJSU_SV_SW_SX_SY_EEENS5_IJS1M_SX_SY_NST_IJLi5ELi6ELi7EEEENST_IJLi8ELi9ELi10EEEEEEENST_IJLi5ELi6ELi7ELi8ELi9ELi10EEEElEEEEES34_NS_31BlockToCTileMap_M00_N00_M01_N01ILi128ELi128ES1V_Lb0EEENS1_30ComputePtrOffsetOfStridedBatchILi1ELi1ELi1EvEELb1ELb1EEEvPKT0_S3C_T1_PT2_T3_T4_T5_iT6_T7_T8_T9_T10_T11_
                                        ; -- End function
	.section	.AMDGPU.csdata,"",@progbits
; Kernel info:
; codeLenInByte = 18256
; NumSgprs: 106
; NumVgprs: 90
; NumAgprs: 0
; TotalNumVgprs: 90
; ScratchSize: 480
; MemoryBound: 0
; FloatMode: 240
; IeeeMode: 1
; LDSByteSize: 32768 bytes/workgroup (compile time only)
; SGPRBlocks: 13
; VGPRBlocks: 11
; NumSGPRsForWavesPerEU: 106
; NumVGPRsForWavesPerEU: 90
; AccumOffset: 92
; Occupancy: 2
; WaveLimiterHint : 1
; COMPUTE_PGM_RSRC2:SCRATCH_EN: 1
; COMPUTE_PGM_RSRC2:USER_SGPR: 8
; COMPUTE_PGM_RSRC2:TRAP_HANDLER: 0
; COMPUTE_PGM_RSRC2:TGID_X_EN: 1
; COMPUTE_PGM_RSRC2:TGID_Y_EN: 0
; COMPUTE_PGM_RSRC2:TGID_Z_EN: 0
; COMPUTE_PGM_RSRC2:TIDIG_COMP_CNT: 0
; COMPUTE_PGM_RSRC3_GFX90A:ACCUM_OFFSET: 22
; COMPUTE_PGM_RSRC3_GFX90A:TG_SPLIT: 0
	.section	.text._ZN2ck16tensor_operation6device12_GLOBAL__N_137kernel_grouped_conv_fwd_dl_multiple_dINS_32GridwiseGemmDlMultipleD_km_kn_mnILi256EaiNS_5TupleIJaEEEaNS0_12element_wise11PassThroughES8_NS7_7AddReluELNS_25InMemoryDataOperationEnumE0ENS_16TensorDescriptorINS5_IJNS_5EmbedINS5_IJiiiiEEESD_Lb0EEENS_11PassThroughIiEENS_3PadIiiiLb0EEESI_SG_SG_NSC_INS5_IJiiEEESJ_Lb0EEESK_SG_NS_23Merge_v2_magic_divisionINS5_IJiiiEEEEESN_NS_8RightPadIiiLb0EEESP_NS_7UnMergeISJ_Lb0EEESG_EEENS5_IJNS_8SequenceIJLi0EEEENST_IJLi1EEEENST_IJLi2EEEENST_IJLi3EEEENST_IJLi4EEEENST_IJLi5EEEENST_IJLi6EEEENST_IJLi7EEEENST_IJLi8EEEENST_IJLi9ELi11ELi13EEEENST_IJLi10ELi12ELi14EEEENST_IJLi15EEEENST_IJLi16EEEENST_IJLi18EEEENST_IJLi17EEEEEEENS5_IJNST_IJLi1ELi2ELi3ELi4EEEESZ_S10_S11_S12_NST_IJLi9EEEENST_IJLi10ELi11EEEENST_IJLi12ELi13EEEENST_IJLi14EEEES15_S16_S18_S17_NST_IJLi19ELi20EEEENST_IJLi21EEEEEEENST_IJLi19ELi21ELi20EEEElEENSB_INS5_IJSR_SP_SP_SR_SG_EEENS5_IJSU_SV_SW_SY_SX_EEENS5_IJNST_IJLi1ELi2EEEESX_SY_NST_IJLi5ELi6EEEES11_EEENST_IJLi5ELi7ELi6EEEElEENSB_INS5_IJSK_SP_SP_EEENS5_IJSU_SV_SW_EEENS5_IJS1M_SX_SY_EEENST_IJLi3ELi4EEEElEELi128ELi128ELi16ELi4ELi4ELi4ELi1ENST_IJLi8ELi2EEEES1W_NST_IJLi8ELi1ELi1ELi4EEEENST_IJLi2ELi1ELi128ELi1EEEENST_IJLi1ELi2ELi0ELi3EEEES1Z_NST_IJLi4ELi1ELi1ELi4EEEES1Z_NST_IJLi1ELi1ELi1ELi4EEEES1X_S1Y_S1Z_S1Z_S20_S1Z_S21_NST_IJLi0ELi1ELi2ELi3ELi4ELi5EEEELi5ELi4EEEaNS5_IJPKaEEEaS8_S8_S9_NSB_INS5_IJSE_SG_SI_SI_SG_SG_SK_SK_SG_SN_SN_SP_SP_SR_SG_SG_NSQ_INS5_IJiNS_17integral_constantIiLi128EEEEEELb0EEENSF_INS27_IiLi4EEEEEEEENS5_IJSU_SV_SW_SX_SY_SZ_S10_S11_S12_S13_S14_S15_S16_S17_S18_NST_IJLi19EEEES1G_NST_IJLi20EEEEEEENS5_IJS1A_SZ_S10_S11_S12_S1B_S1C_S1D_S1E_S15_S16_S18_S17_S1F_S1G_NST_IJLi22EEEENST_IJLi23ELi24EEEENST_IJLi25EEEEEEENST_IJLi22ELi23ELi24ELi25EEEElEENSB_INS5_IJSR_SP_SP_SR_SG_SG_S2A_S2C_EEENS5_IJSU_SV_SW_SY_SX_SZ_S11_S10_EEENS5_IJS1M_SX_SY_S1N_S11_S12_NST_IJLi9ELi10EEEENST_IJLi11EEEEEEENST_IJLi8ELi9ELi10ELi11EEEElEENS5_IJNSB_INS5_IJSK_SP_SP_NSQ_INS5_IJiNS27_IiLi2EEENS27_IiLi64EEEEEELb0EEES2X_EEENS5_IJSU_SV_SW_SX_SY_EEENS5_IJS1M_SX_SY_NST_IJLi5ELi6ELi7EEEENST_IJLi8ELi9ELi10EEEEEEENST_IJLi5ELi6ELi7ELi8ELi9ELi10EEEElEEEEES34_NS_31BlockToCTileMap_M00_N00_M01_N01ILi128ELi128ES1V_Lb0EEENS1_30ComputePtrOffsetOfStridedBatchILi1ELi1ELi1EvEELb1ELb0EEEvPKT0_S3C_T1_PT2_T3_T4_T5_iT6_T7_T8_T9_T10_T11_,"axG",@progbits,_ZN2ck16tensor_operation6device12_GLOBAL__N_137kernel_grouped_conv_fwd_dl_multiple_dINS_32GridwiseGemmDlMultipleD_km_kn_mnILi256EaiNS_5TupleIJaEEEaNS0_12element_wise11PassThroughES8_NS7_7AddReluELNS_25InMemoryDataOperationEnumE0ENS_16TensorDescriptorINS5_IJNS_5EmbedINS5_IJiiiiEEESD_Lb0EEENS_11PassThroughIiEENS_3PadIiiiLb0EEESI_SG_SG_NSC_INS5_IJiiEEESJ_Lb0EEESK_SG_NS_23Merge_v2_magic_divisionINS5_IJiiiEEEEESN_NS_8RightPadIiiLb0EEESP_NS_7UnMergeISJ_Lb0EEESG_EEENS5_IJNS_8SequenceIJLi0EEEENST_IJLi1EEEENST_IJLi2EEEENST_IJLi3EEEENST_IJLi4EEEENST_IJLi5EEEENST_IJLi6EEEENST_IJLi7EEEENST_IJLi8EEEENST_IJLi9ELi11ELi13EEEENST_IJLi10ELi12ELi14EEEENST_IJLi15EEEENST_IJLi16EEEENST_IJLi18EEEENST_IJLi17EEEEEEENS5_IJNST_IJLi1ELi2ELi3ELi4EEEESZ_S10_S11_S12_NST_IJLi9EEEENST_IJLi10ELi11EEEENST_IJLi12ELi13EEEENST_IJLi14EEEES15_S16_S18_S17_NST_IJLi19ELi20EEEENST_IJLi21EEEEEEENST_IJLi19ELi21ELi20EEEElEENSB_INS5_IJSR_SP_SP_SR_SG_EEENS5_IJSU_SV_SW_SY_SX_EEENS5_IJNST_IJLi1ELi2EEEESX_SY_NST_IJLi5ELi6EEEES11_EEENST_IJLi5ELi7ELi6EEEElEENSB_INS5_IJSK_SP_SP_EEENS5_IJSU_SV_SW_EEENS5_IJS1M_SX_SY_EEENST_IJLi3ELi4EEEElEELi128ELi128ELi16ELi4ELi4ELi4ELi1ENST_IJLi8ELi2EEEES1W_NST_IJLi8ELi1ELi1ELi4EEEENST_IJLi2ELi1ELi128ELi1EEEENST_IJLi1ELi2ELi0ELi3EEEES1Z_NST_IJLi4ELi1ELi1ELi4EEEES1Z_NST_IJLi1ELi1ELi1ELi4EEEES1X_S1Y_S1Z_S1Z_S20_S1Z_S21_NST_IJLi0ELi1ELi2ELi3ELi4ELi5EEEELi5ELi4EEEaNS5_IJPKaEEEaS8_S8_S9_NSB_INS5_IJSE_SG_SI_SI_SG_SG_SK_SK_SG_SN_SN_SP_SP_SR_SG_SG_NSQ_INS5_IJiNS_17integral_constantIiLi128EEEEEELb0EEENSF_INS27_IiLi4EEEEEEEENS5_IJSU_SV_SW_SX_SY_SZ_S10_S11_S12_S13_S14_S15_S16_S17_S18_NST_IJLi19EEEES1G_NST_IJLi20EEEEEEENS5_IJS1A_SZ_S10_S11_S12_S1B_S1C_S1D_S1E_S15_S16_S18_S17_S1F_S1G_NST_IJLi22EEEENST_IJLi23ELi24EEEENST_IJLi25EEEEEEENST_IJLi22ELi23ELi24ELi25EEEElEENSB_INS5_IJSR_SP_SP_SR_SG_SG_S2A_S2C_EEENS5_IJSU_SV_SW_SY_SX_SZ_S11_S10_EEENS5_IJS1M_SX_SY_S1N_S11_S12_NST_IJLi9ELi10EEEENST_IJLi11EEEEEEENST_IJLi8ELi9ELi10ELi11EEEElEENS5_IJNSB_INS5_IJSK_SP_SP_NSQ_INS5_IJiNS27_IiLi2EEENS27_IiLi64EEEEEELb0EEES2X_EEENS5_IJSU_SV_SW_SX_SY_EEENS5_IJS1M_SX_SY_NST_IJLi5ELi6ELi7EEEENST_IJLi8ELi9ELi10EEEEEEENST_IJLi5ELi6ELi7ELi8ELi9ELi10EEEElEEEEES34_NS_31BlockToCTileMap_M00_N00_M01_N01ILi128ELi128ES1V_Lb0EEENS1_30ComputePtrOffsetOfStridedBatchILi1ELi1ELi1EvEELb1ELb0EEEvPKT0_S3C_T1_PT2_T3_T4_T5_iT6_T7_T8_T9_T10_T11_,comdat
	.globl	_ZN2ck16tensor_operation6device12_GLOBAL__N_137kernel_grouped_conv_fwd_dl_multiple_dINS_32GridwiseGemmDlMultipleD_km_kn_mnILi256EaiNS_5TupleIJaEEEaNS0_12element_wise11PassThroughES8_NS7_7AddReluELNS_25InMemoryDataOperationEnumE0ENS_16TensorDescriptorINS5_IJNS_5EmbedINS5_IJiiiiEEESD_Lb0EEENS_11PassThroughIiEENS_3PadIiiiLb0EEESI_SG_SG_NSC_INS5_IJiiEEESJ_Lb0EEESK_SG_NS_23Merge_v2_magic_divisionINS5_IJiiiEEEEESN_NS_8RightPadIiiLb0EEESP_NS_7UnMergeISJ_Lb0EEESG_EEENS5_IJNS_8SequenceIJLi0EEEENST_IJLi1EEEENST_IJLi2EEEENST_IJLi3EEEENST_IJLi4EEEENST_IJLi5EEEENST_IJLi6EEEENST_IJLi7EEEENST_IJLi8EEEENST_IJLi9ELi11ELi13EEEENST_IJLi10ELi12ELi14EEEENST_IJLi15EEEENST_IJLi16EEEENST_IJLi18EEEENST_IJLi17EEEEEEENS5_IJNST_IJLi1ELi2ELi3ELi4EEEESZ_S10_S11_S12_NST_IJLi9EEEENST_IJLi10ELi11EEEENST_IJLi12ELi13EEEENST_IJLi14EEEES15_S16_S18_S17_NST_IJLi19ELi20EEEENST_IJLi21EEEEEEENST_IJLi19ELi21ELi20EEEElEENSB_INS5_IJSR_SP_SP_SR_SG_EEENS5_IJSU_SV_SW_SY_SX_EEENS5_IJNST_IJLi1ELi2EEEESX_SY_NST_IJLi5ELi6EEEES11_EEENST_IJLi5ELi7ELi6EEEElEENSB_INS5_IJSK_SP_SP_EEENS5_IJSU_SV_SW_EEENS5_IJS1M_SX_SY_EEENST_IJLi3ELi4EEEElEELi128ELi128ELi16ELi4ELi4ELi4ELi1ENST_IJLi8ELi2EEEES1W_NST_IJLi8ELi1ELi1ELi4EEEENST_IJLi2ELi1ELi128ELi1EEEENST_IJLi1ELi2ELi0ELi3EEEES1Z_NST_IJLi4ELi1ELi1ELi4EEEES1Z_NST_IJLi1ELi1ELi1ELi4EEEES1X_S1Y_S1Z_S1Z_S20_S1Z_S21_NST_IJLi0ELi1ELi2ELi3ELi4ELi5EEEELi5ELi4EEEaNS5_IJPKaEEEaS8_S8_S9_NSB_INS5_IJSE_SG_SI_SI_SG_SG_SK_SK_SG_SN_SN_SP_SP_SR_SG_SG_NSQ_INS5_IJiNS_17integral_constantIiLi128EEEEEELb0EEENSF_INS27_IiLi4EEEEEEEENS5_IJSU_SV_SW_SX_SY_SZ_S10_S11_S12_S13_S14_S15_S16_S17_S18_NST_IJLi19EEEES1G_NST_IJLi20EEEEEEENS5_IJS1A_SZ_S10_S11_S12_S1B_S1C_S1D_S1E_S15_S16_S18_S17_S1F_S1G_NST_IJLi22EEEENST_IJLi23ELi24EEEENST_IJLi25EEEEEEENST_IJLi22ELi23ELi24ELi25EEEElEENSB_INS5_IJSR_SP_SP_SR_SG_SG_S2A_S2C_EEENS5_IJSU_SV_SW_SY_SX_SZ_S11_S10_EEENS5_IJS1M_SX_SY_S1N_S11_S12_NST_IJLi9ELi10EEEENST_IJLi11EEEEEEENST_IJLi8ELi9ELi10ELi11EEEElEENS5_IJNSB_INS5_IJSK_SP_SP_NSQ_INS5_IJiNS27_IiLi2EEENS27_IiLi64EEEEEELb0EEES2X_EEENS5_IJSU_SV_SW_SX_SY_EEENS5_IJS1M_SX_SY_NST_IJLi5ELi6ELi7EEEENST_IJLi8ELi9ELi10EEEEEEENST_IJLi5ELi6ELi7ELi8ELi9ELi10EEEElEEEEES34_NS_31BlockToCTileMap_M00_N00_M01_N01ILi128ELi128ES1V_Lb0EEENS1_30ComputePtrOffsetOfStridedBatchILi1ELi1ELi1EvEELb1ELb0EEEvPKT0_S3C_T1_PT2_T3_T4_T5_iT6_T7_T8_T9_T10_T11_ ; -- Begin function _ZN2ck16tensor_operation6device12_GLOBAL__N_137kernel_grouped_conv_fwd_dl_multiple_dINS_32GridwiseGemmDlMultipleD_km_kn_mnILi256EaiNS_5TupleIJaEEEaNS0_12element_wise11PassThroughES8_NS7_7AddReluELNS_25InMemoryDataOperationEnumE0ENS_16TensorDescriptorINS5_IJNS_5EmbedINS5_IJiiiiEEESD_Lb0EEENS_11PassThroughIiEENS_3PadIiiiLb0EEESI_SG_SG_NSC_INS5_IJiiEEESJ_Lb0EEESK_SG_NS_23Merge_v2_magic_divisionINS5_IJiiiEEEEESN_NS_8RightPadIiiLb0EEESP_NS_7UnMergeISJ_Lb0EEESG_EEENS5_IJNS_8SequenceIJLi0EEEENST_IJLi1EEEENST_IJLi2EEEENST_IJLi3EEEENST_IJLi4EEEENST_IJLi5EEEENST_IJLi6EEEENST_IJLi7EEEENST_IJLi8EEEENST_IJLi9ELi11ELi13EEEENST_IJLi10ELi12ELi14EEEENST_IJLi15EEEENST_IJLi16EEEENST_IJLi18EEEENST_IJLi17EEEEEEENS5_IJNST_IJLi1ELi2ELi3ELi4EEEESZ_S10_S11_S12_NST_IJLi9EEEENST_IJLi10ELi11EEEENST_IJLi12ELi13EEEENST_IJLi14EEEES15_S16_S18_S17_NST_IJLi19ELi20EEEENST_IJLi21EEEEEEENST_IJLi19ELi21ELi20EEEElEENSB_INS5_IJSR_SP_SP_SR_SG_EEENS5_IJSU_SV_SW_SY_SX_EEENS5_IJNST_IJLi1ELi2EEEESX_SY_NST_IJLi5ELi6EEEES11_EEENST_IJLi5ELi7ELi6EEEElEENSB_INS5_IJSK_SP_SP_EEENS5_IJSU_SV_SW_EEENS5_IJS1M_SX_SY_EEENST_IJLi3ELi4EEEElEELi128ELi128ELi16ELi4ELi4ELi4ELi1ENST_IJLi8ELi2EEEES1W_NST_IJLi8ELi1ELi1ELi4EEEENST_IJLi2ELi1ELi128ELi1EEEENST_IJLi1ELi2ELi0ELi3EEEES1Z_NST_IJLi4ELi1ELi1ELi4EEEES1Z_NST_IJLi1ELi1ELi1ELi4EEEES1X_S1Y_S1Z_S1Z_S20_S1Z_S21_NST_IJLi0ELi1ELi2ELi3ELi4ELi5EEEELi5ELi4EEEaNS5_IJPKaEEEaS8_S8_S9_NSB_INS5_IJSE_SG_SI_SI_SG_SG_SK_SK_SG_SN_SN_SP_SP_SR_SG_SG_NSQ_INS5_IJiNS_17integral_constantIiLi128EEEEEELb0EEENSF_INS27_IiLi4EEEEEEEENS5_IJSU_SV_SW_SX_SY_SZ_S10_S11_S12_S13_S14_S15_S16_S17_S18_NST_IJLi19EEEES1G_NST_IJLi20EEEEEEENS5_IJS1A_SZ_S10_S11_S12_S1B_S1C_S1D_S1E_S15_S16_S18_S17_S1F_S1G_NST_IJLi22EEEENST_IJLi23ELi24EEEENST_IJLi25EEEEEEENST_IJLi22ELi23ELi24ELi25EEEElEENSB_INS5_IJSR_SP_SP_SR_SG_SG_S2A_S2C_EEENS5_IJSU_SV_SW_SY_SX_SZ_S11_S10_EEENS5_IJS1M_SX_SY_S1N_S11_S12_NST_IJLi9ELi10EEEENST_IJLi11EEEEEEENST_IJLi8ELi9ELi10ELi11EEEElEENS5_IJNSB_INS5_IJSK_SP_SP_NSQ_INS5_IJiNS27_IiLi2EEENS27_IiLi64EEEEEELb0EEES2X_EEENS5_IJSU_SV_SW_SX_SY_EEENS5_IJS1M_SX_SY_NST_IJLi5ELi6ELi7EEEENST_IJLi8ELi9ELi10EEEEEEENST_IJLi5ELi6ELi7ELi8ELi9ELi10EEEElEEEEES34_NS_31BlockToCTileMap_M00_N00_M01_N01ILi128ELi128ES1V_Lb0EEENS1_30ComputePtrOffsetOfStridedBatchILi1ELi1ELi1EvEELb1ELb0EEEvPKT0_S3C_T1_PT2_T3_T4_T5_iT6_T7_T8_T9_T10_T11_
	.p2align	8
	.type	_ZN2ck16tensor_operation6device12_GLOBAL__N_137kernel_grouped_conv_fwd_dl_multiple_dINS_32GridwiseGemmDlMultipleD_km_kn_mnILi256EaiNS_5TupleIJaEEEaNS0_12element_wise11PassThroughES8_NS7_7AddReluELNS_25InMemoryDataOperationEnumE0ENS_16TensorDescriptorINS5_IJNS_5EmbedINS5_IJiiiiEEESD_Lb0EEENS_11PassThroughIiEENS_3PadIiiiLb0EEESI_SG_SG_NSC_INS5_IJiiEEESJ_Lb0EEESK_SG_NS_23Merge_v2_magic_divisionINS5_IJiiiEEEEESN_NS_8RightPadIiiLb0EEESP_NS_7UnMergeISJ_Lb0EEESG_EEENS5_IJNS_8SequenceIJLi0EEEENST_IJLi1EEEENST_IJLi2EEEENST_IJLi3EEEENST_IJLi4EEEENST_IJLi5EEEENST_IJLi6EEEENST_IJLi7EEEENST_IJLi8EEEENST_IJLi9ELi11ELi13EEEENST_IJLi10ELi12ELi14EEEENST_IJLi15EEEENST_IJLi16EEEENST_IJLi18EEEENST_IJLi17EEEEEEENS5_IJNST_IJLi1ELi2ELi3ELi4EEEESZ_S10_S11_S12_NST_IJLi9EEEENST_IJLi10ELi11EEEENST_IJLi12ELi13EEEENST_IJLi14EEEES15_S16_S18_S17_NST_IJLi19ELi20EEEENST_IJLi21EEEEEEENST_IJLi19ELi21ELi20EEEElEENSB_INS5_IJSR_SP_SP_SR_SG_EEENS5_IJSU_SV_SW_SY_SX_EEENS5_IJNST_IJLi1ELi2EEEESX_SY_NST_IJLi5ELi6EEEES11_EEENST_IJLi5ELi7ELi6EEEElEENSB_INS5_IJSK_SP_SP_EEENS5_IJSU_SV_SW_EEENS5_IJS1M_SX_SY_EEENST_IJLi3ELi4EEEElEELi128ELi128ELi16ELi4ELi4ELi4ELi1ENST_IJLi8ELi2EEEES1W_NST_IJLi8ELi1ELi1ELi4EEEENST_IJLi2ELi1ELi128ELi1EEEENST_IJLi1ELi2ELi0ELi3EEEES1Z_NST_IJLi4ELi1ELi1ELi4EEEES1Z_NST_IJLi1ELi1ELi1ELi4EEEES1X_S1Y_S1Z_S1Z_S20_S1Z_S21_NST_IJLi0ELi1ELi2ELi3ELi4ELi5EEEELi5ELi4EEEaNS5_IJPKaEEEaS8_S8_S9_NSB_INS5_IJSE_SG_SI_SI_SG_SG_SK_SK_SG_SN_SN_SP_SP_SR_SG_SG_NSQ_INS5_IJiNS_17integral_constantIiLi128EEEEEELb0EEENSF_INS27_IiLi4EEEEEEEENS5_IJSU_SV_SW_SX_SY_SZ_S10_S11_S12_S13_S14_S15_S16_S17_S18_NST_IJLi19EEEES1G_NST_IJLi20EEEEEEENS5_IJS1A_SZ_S10_S11_S12_S1B_S1C_S1D_S1E_S15_S16_S18_S17_S1F_S1G_NST_IJLi22EEEENST_IJLi23ELi24EEEENST_IJLi25EEEEEEENST_IJLi22ELi23ELi24ELi25EEEElEENSB_INS5_IJSR_SP_SP_SR_SG_SG_S2A_S2C_EEENS5_IJSU_SV_SW_SY_SX_SZ_S11_S10_EEENS5_IJS1M_SX_SY_S1N_S11_S12_NST_IJLi9ELi10EEEENST_IJLi11EEEEEEENST_IJLi8ELi9ELi10ELi11EEEElEENS5_IJNSB_INS5_IJSK_SP_SP_NSQ_INS5_IJiNS27_IiLi2EEENS27_IiLi64EEEEEELb0EEES2X_EEENS5_IJSU_SV_SW_SX_SY_EEENS5_IJS1M_SX_SY_NST_IJLi5ELi6ELi7EEEENST_IJLi8ELi9ELi10EEEEEEENST_IJLi5ELi6ELi7ELi8ELi9ELi10EEEElEEEEES34_NS_31BlockToCTileMap_M00_N00_M01_N01ILi128ELi128ES1V_Lb0EEENS1_30ComputePtrOffsetOfStridedBatchILi1ELi1ELi1EvEELb1ELb0EEEvPKT0_S3C_T1_PT2_T3_T4_T5_iT6_T7_T8_T9_T10_T11_,@function
_ZN2ck16tensor_operation6device12_GLOBAL__N_137kernel_grouped_conv_fwd_dl_multiple_dINS_32GridwiseGemmDlMultipleD_km_kn_mnILi256EaiNS_5TupleIJaEEEaNS0_12element_wise11PassThroughES8_NS7_7AddReluELNS_25InMemoryDataOperationEnumE0ENS_16TensorDescriptorINS5_IJNS_5EmbedINS5_IJiiiiEEESD_Lb0EEENS_11PassThroughIiEENS_3PadIiiiLb0EEESI_SG_SG_NSC_INS5_IJiiEEESJ_Lb0EEESK_SG_NS_23Merge_v2_magic_divisionINS5_IJiiiEEEEESN_NS_8RightPadIiiLb0EEESP_NS_7UnMergeISJ_Lb0EEESG_EEENS5_IJNS_8SequenceIJLi0EEEENST_IJLi1EEEENST_IJLi2EEEENST_IJLi3EEEENST_IJLi4EEEENST_IJLi5EEEENST_IJLi6EEEENST_IJLi7EEEENST_IJLi8EEEENST_IJLi9ELi11ELi13EEEENST_IJLi10ELi12ELi14EEEENST_IJLi15EEEENST_IJLi16EEEENST_IJLi18EEEENST_IJLi17EEEEEEENS5_IJNST_IJLi1ELi2ELi3ELi4EEEESZ_S10_S11_S12_NST_IJLi9EEEENST_IJLi10ELi11EEEENST_IJLi12ELi13EEEENST_IJLi14EEEES15_S16_S18_S17_NST_IJLi19ELi20EEEENST_IJLi21EEEEEEENST_IJLi19ELi21ELi20EEEElEENSB_INS5_IJSR_SP_SP_SR_SG_EEENS5_IJSU_SV_SW_SY_SX_EEENS5_IJNST_IJLi1ELi2EEEESX_SY_NST_IJLi5ELi6EEEES11_EEENST_IJLi5ELi7ELi6EEEElEENSB_INS5_IJSK_SP_SP_EEENS5_IJSU_SV_SW_EEENS5_IJS1M_SX_SY_EEENST_IJLi3ELi4EEEElEELi128ELi128ELi16ELi4ELi4ELi4ELi1ENST_IJLi8ELi2EEEES1W_NST_IJLi8ELi1ELi1ELi4EEEENST_IJLi2ELi1ELi128ELi1EEEENST_IJLi1ELi2ELi0ELi3EEEES1Z_NST_IJLi4ELi1ELi1ELi4EEEES1Z_NST_IJLi1ELi1ELi1ELi4EEEES1X_S1Y_S1Z_S1Z_S20_S1Z_S21_NST_IJLi0ELi1ELi2ELi3ELi4ELi5EEEELi5ELi4EEEaNS5_IJPKaEEEaS8_S8_S9_NSB_INS5_IJSE_SG_SI_SI_SG_SG_SK_SK_SG_SN_SN_SP_SP_SR_SG_SG_NSQ_INS5_IJiNS_17integral_constantIiLi128EEEEEELb0EEENSF_INS27_IiLi4EEEEEEEENS5_IJSU_SV_SW_SX_SY_SZ_S10_S11_S12_S13_S14_S15_S16_S17_S18_NST_IJLi19EEEES1G_NST_IJLi20EEEEEEENS5_IJS1A_SZ_S10_S11_S12_S1B_S1C_S1D_S1E_S15_S16_S18_S17_S1F_S1G_NST_IJLi22EEEENST_IJLi23ELi24EEEENST_IJLi25EEEEEEENST_IJLi22ELi23ELi24ELi25EEEElEENSB_INS5_IJSR_SP_SP_SR_SG_SG_S2A_S2C_EEENS5_IJSU_SV_SW_SY_SX_SZ_S11_S10_EEENS5_IJS1M_SX_SY_S1N_S11_S12_NST_IJLi9ELi10EEEENST_IJLi11EEEEEEENST_IJLi8ELi9ELi10ELi11EEEElEENS5_IJNSB_INS5_IJSK_SP_SP_NSQ_INS5_IJiNS27_IiLi2EEENS27_IiLi64EEEEEELb0EEES2X_EEENS5_IJSU_SV_SW_SX_SY_EEENS5_IJS1M_SX_SY_NST_IJLi5ELi6ELi7EEEENST_IJLi8ELi9ELi10EEEEEEENST_IJLi5ELi6ELi7ELi8ELi9ELi10EEEElEEEEES34_NS_31BlockToCTileMap_M00_N00_M01_N01ILi128ELi128ES1V_Lb0EEENS1_30ComputePtrOffsetOfStridedBatchILi1ELi1ELi1EvEELb1ELb0EEEvPKT0_S3C_T1_PT2_T3_T4_T5_iT6_T7_T8_T9_T10_T11_: ; @_ZN2ck16tensor_operation6device12_GLOBAL__N_137kernel_grouped_conv_fwd_dl_multiple_dINS_32GridwiseGemmDlMultipleD_km_kn_mnILi256EaiNS_5TupleIJaEEEaNS0_12element_wise11PassThroughES8_NS7_7AddReluELNS_25InMemoryDataOperationEnumE0ENS_16TensorDescriptorINS5_IJNS_5EmbedINS5_IJiiiiEEESD_Lb0EEENS_11PassThroughIiEENS_3PadIiiiLb0EEESI_SG_SG_NSC_INS5_IJiiEEESJ_Lb0EEESK_SG_NS_23Merge_v2_magic_divisionINS5_IJiiiEEEEESN_NS_8RightPadIiiLb0EEESP_NS_7UnMergeISJ_Lb0EEESG_EEENS5_IJNS_8SequenceIJLi0EEEENST_IJLi1EEEENST_IJLi2EEEENST_IJLi3EEEENST_IJLi4EEEENST_IJLi5EEEENST_IJLi6EEEENST_IJLi7EEEENST_IJLi8EEEENST_IJLi9ELi11ELi13EEEENST_IJLi10ELi12ELi14EEEENST_IJLi15EEEENST_IJLi16EEEENST_IJLi18EEEENST_IJLi17EEEEEEENS5_IJNST_IJLi1ELi2ELi3ELi4EEEESZ_S10_S11_S12_NST_IJLi9EEEENST_IJLi10ELi11EEEENST_IJLi12ELi13EEEENST_IJLi14EEEES15_S16_S18_S17_NST_IJLi19ELi20EEEENST_IJLi21EEEEEEENST_IJLi19ELi21ELi20EEEElEENSB_INS5_IJSR_SP_SP_SR_SG_EEENS5_IJSU_SV_SW_SY_SX_EEENS5_IJNST_IJLi1ELi2EEEESX_SY_NST_IJLi5ELi6EEEES11_EEENST_IJLi5ELi7ELi6EEEElEENSB_INS5_IJSK_SP_SP_EEENS5_IJSU_SV_SW_EEENS5_IJS1M_SX_SY_EEENST_IJLi3ELi4EEEElEELi128ELi128ELi16ELi4ELi4ELi4ELi1ENST_IJLi8ELi2EEEES1W_NST_IJLi8ELi1ELi1ELi4EEEENST_IJLi2ELi1ELi128ELi1EEEENST_IJLi1ELi2ELi0ELi3EEEES1Z_NST_IJLi4ELi1ELi1ELi4EEEES1Z_NST_IJLi1ELi1ELi1ELi4EEEES1X_S1Y_S1Z_S1Z_S20_S1Z_S21_NST_IJLi0ELi1ELi2ELi3ELi4ELi5EEEELi5ELi4EEEaNS5_IJPKaEEEaS8_S8_S9_NSB_INS5_IJSE_SG_SI_SI_SG_SG_SK_SK_SG_SN_SN_SP_SP_SR_SG_SG_NSQ_INS5_IJiNS_17integral_constantIiLi128EEEEEELb0EEENSF_INS27_IiLi4EEEEEEEENS5_IJSU_SV_SW_SX_SY_SZ_S10_S11_S12_S13_S14_S15_S16_S17_S18_NST_IJLi19EEEES1G_NST_IJLi20EEEEEEENS5_IJS1A_SZ_S10_S11_S12_S1B_S1C_S1D_S1E_S15_S16_S18_S17_S1F_S1G_NST_IJLi22EEEENST_IJLi23ELi24EEEENST_IJLi25EEEEEEENST_IJLi22ELi23ELi24ELi25EEEElEENSB_INS5_IJSR_SP_SP_SR_SG_SG_S2A_S2C_EEENS5_IJSU_SV_SW_SY_SX_SZ_S11_S10_EEENS5_IJS1M_SX_SY_S1N_S11_S12_NST_IJLi9ELi10EEEENST_IJLi11EEEEEEENST_IJLi8ELi9ELi10ELi11EEEElEENS5_IJNSB_INS5_IJSK_SP_SP_NSQ_INS5_IJiNS27_IiLi2EEENS27_IiLi64EEEEEELb0EEES2X_EEENS5_IJSU_SV_SW_SX_SY_EEENS5_IJS1M_SX_SY_NST_IJLi5ELi6ELi7EEEENST_IJLi8ELi9ELi10EEEEEEENST_IJLi5ELi6ELi7ELi8ELi9ELi10EEEElEEEEES34_NS_31BlockToCTileMap_M00_N00_M01_N01ILi128ELi128ES1V_Lb0EEENS1_30ComputePtrOffsetOfStridedBatchILi1ELi1ELi1EvEELb1ELb0EEEvPKT0_S3C_T1_PT2_T3_T4_T5_iT6_T7_T8_T9_T10_T11_
; %bb.0:
	s_add_u32 flat_scratch_lo, s6, s9
	s_addc_u32 flat_scratch_hi, s7, 0
	s_mov_b64 s[6:7], s[4:5]
	s_load_dwordx4 s[12:15], s[4:5], 0x0
	s_nop 0
	s_load_dwordx2 s[4:5], s[4:5], 0x18
                                        ; implicit-def: $vgpr111 : SGPR spill to VGPR lane
	s_add_u32 s0, s0, s9
	s_addc_u32 s1, s1, 0
	v_lshrrev_b32_e32 v4, 5, v0
	v_lshlrev_b32_e32 v7, 1, v0
	s_waitcnt lgkmcnt(0)
	v_writelane_b32 v111, s4, 0
	v_writelane_b32 v111, s5, 1
	s_load_dword s16, s[6:7], 0x24
	s_load_dwordx4 s[40:43], s[6:7], 0x38
	s_load_dwordx4 s[36:39], s[6:7], 0x4c
	s_load_dwordx2 s[60:61], s[6:7], 0x5c
	s_load_dwordx2 s[62:63], s[6:7], 0x74
	s_load_dwordx2 s[10:11], s[6:7], 0xa0
	s_load_dwordx2 s[4:5], s[6:7], 0xac
	s_load_dwordx2 s[64:65], s[6:7], 0xbc
	s_load_dwordx2 s[66:67], s[6:7], 0xc8
	s_waitcnt lgkmcnt(0)
	s_abs_i32 s17, s16
	v_cvt_f32_u32_e32 v1, s17
	s_load_dwordx2 s[68:69], s[6:7], 0xd4
	s_load_dword s9, s[6:7], 0xe4
	s_load_dword s76, s[6:7], 0xf0
	s_load_dword s58, s[6:7], 0x100
	s_load_dword s70, s[6:7], 0x10c
	s_load_dword s46, s[6:7], 0x128
	s_load_dword s33, s[6:7], 0x138
	s_load_dword s83, s[6:7], 0x144
	s_load_dword s18, s[6:7], 0x2c8
	s_load_dword s59, s[6:7], 0x160
	s_load_dword s50, s[6:7], 0x188
	s_load_dwordx2 s[20:21], s[6:7], 0x198
	s_load_dword s63, s[6:7], 0x1a4
	s_load_dword s19, s[6:7], 0x1b0
	v_rcp_iflag_f32_e32 v1, v1
	v_lshlrev_b32_e32 v6, 6, v4
	s_waitcnt lgkmcnt(0)
	s_xor_b32 s16, s18, s16
	v_writelane_b32 v111, s20, 2
	v_mul_f32_e32 v1, 0x4f7ffffe, v1
	v_cvt_u32_f32_e32 v1, v1
	v_writelane_b32 v111, s21, 3
	v_writelane_b32 v111, s19, 4
	s_sub_i32 s19, 0, s17
	v_readfirstlane_b32 s20, v1
	s_mul_i32 s19, s19, s20
	s_mul_hi_u32 s19, s20, s19
	s_abs_i32 s18, s18
	s_add_i32 s20, s20, s19
	s_mul_hi_u32 s19, s18, s20
	s_mul_i32 s20, s19, s17
	s_sub_i32 s18, s18, s20
	s_ashr_i32 s16, s16, 31
	s_add_i32 s20, s19, 1
	s_sub_i32 s21, s18, s17
	s_cmp_ge_u32 s18, s17
	s_cselect_b32 s19, s20, s19
	s_cselect_b32 s18, s21, s18
	s_add_i32 s20, s19, 1
	s_cmp_ge_u32 s18, s17
	s_cselect_b32 s17, s20, s19
	s_xor_b32 s17, s17, s16
	s_sub_i32 s34, s17, s16
	s_abs_i32 s35, s34
	v_cvt_f32_u32_e32 v1, s35
	s_sub_i32 s45, 0, s35
	s_abs_i32 s44, s8
	s_xor_b32 s34, s8, s34
	v_rcp_iflag_f32_e32 v1, v1
	s_ashr_i32 s34, s34, 31
	s_load_dword s47, s[6:7], 0x244
	s_load_dword s51, s[6:7], 0x254
	s_load_dwordx4 s[16:19], s[6:7], 0x260
	s_load_dwordx4 s[52:55], s[6:7], 0x274
	;; [unrolled: 1-line block ×3, first 2 shown]
	s_load_dwordx8 s[24:31], s[6:7], 0x2a0
	v_mul_f32_e32 v1, 0x4f7ffffe, v1
	v_cvt_u32_f32_e32 v1, v1
	v_and_b32_e32 v8, 0x1f8, v7
	v_lshrrev_b32_e32 v20, 1, v0
	v_sub_u32_e32 v6, v8, v6
	v_readfirstlane_b32 s48, v1
	s_mul_i32 s45, s45, s48
	s_mul_hi_u32 s45, s48, s45
	s_add_i32 s48, s48, s45
	s_mul_hi_u32 s45, s44, s48
	s_mul_i32 s48, s45, s35
	s_sub_i32 s44, s44, s48
	s_add_i32 s48, s45, 1
	s_sub_i32 s49, s44, s35
	s_cmp_ge_u32 s44, s35
	s_cselect_b32 s45, s48, s45
	s_cselect_b32 s44, s49, s44
	s_add_i32 s48, s45, 1
	s_cmp_ge_u32 s44, s35
	s_cselect_b32 s35, s48, s45
	s_xor_b32 s35, s35, s34
	s_sub_i32 s73, s35, s34
	s_ashr_i32 s74, s73, 31
	s_waitcnt lgkmcnt(0)
	s_mul_i32 s34, s24, s74
	s_mul_hi_u32 s35, s24, s73
	s_add_i32 s34, s35, s34
	s_mul_i32 s25, s25, s73
	s_add_i32 s34, s34, s25
	s_mul_i32 s25, s26, s74
	s_mul_hi_u32 s35, s26, s73
	s_add_i32 s25, s35, s25
	s_mul_i32 s27, s27, s73
	s_add_i32 s25, s25, s27
	s_mul_i32 s27, s30, s74
	s_mul_hi_u32 s35, s30, s73
	s_add_i32 s27, s35, s27
	s_mul_i32 s31, s31, s73
	s_mul_i32 s24, s24, s73
	s_add_i32 s75, s27, s31
	s_add_u32 s44, s12, s24
	s_mul_i32 s26, s26, s73
	s_addc_u32 s45, s13, s34
	s_add_u32 s48, s14, s26
	s_mul_hi_u32 s12, s55, s8
	s_addc_u32 s49, s15, s25
	s_add_i32 s12, s8, s12
	s_lshr_b32 s12, s12, s23
	s_mul_i32 s13, s12, s19
	s_sub_i32 s72, s8, s13
	s_mul_hi_u32 s8, s12, s54
	s_add_i32 s8, s12, s8
	s_lshr_b32 s8, s8, s22
	s_mul_i32 s13, s8, s18
	s_sub_i32 s71, s12, s13
	s_mul_hi_u32 s12, s8, s53
	;; [unrolled: 5-line block ×3, first 2 shown]
	s_add_i32 s13, s12, s13
	v_lshlrev_b32_e32 v1, 3, v0
	v_lshlrev_b32_e32 v0, 2, v0
	s_lshr_b32 s13, s13, s20
	v_and_or_b32 v37, v0, 4, v6
	v_and_b32_e32 v0, 0x1fc, v7
	s_mul_i32 s13, s13, s16
	v_sub_u32_e32 v0, v0, v8
	s_sub_i32 s12, s12, s13
	v_lshl_add_u32 v39, v4, 3, v0
	s_mul_i32 s12, s12, s47
	v_and_b32_e32 v21, 8, v1
	v_mov_b32_e32 v41, 0
	v_lshlrev_b32_e32 v0, 2, v39
	s_add_i32 s71, s71, s12
	v_mul_lo_u32 v22, s58, v21
	buffer_store_dword v41, off, s[0:3], 0 offset:64
	buffer_store_dword v39, off, s[0:3], 0 offset:68
	;; [unrolled: 1-line block ×12, first 2 shown]
	v_lshlrev_b32_e32 v0, 2, v37
	s_mov_b64 s[12:13], src_shared_base
	v_mul_hi_u32 v1, v22, s67
	buffer_store_dword v0, off, s[0:3], 0 offset:112
	buffer_store_dword v41, off, s[0:3], 0 offset:116
	;; [unrolled: 1-line block ×72, first 2 shown]
	v_mov_b32_e32 v0, s13
	v_mov_b32_e32 v4, 0x4000
	v_add_u32_e32 v1, v22, v1
	buffer_store_dword v0, off, s[0:3], 0 offset:404
	buffer_store_dword v41, off, s[0:3], 0 offset:400
	buffer_store_byte v41, off, s[0:3], 0 offset:409
	buffer_store_dword v0, off, s[0:3], 0 offset:420
	buffer_store_dword v4, off, s[0:3], 0 offset:416
	buffer_store_byte v41, off, s[0:3], 0 offset:425
	buffer_store_dword v0, off, s[0:3], 0 offset:436
	v_mov_b32_e32 v4, 0x2000
	s_lshl_b32 s12, s58, 2
	v_lshrrev_b32_e32 v1, s69, v1
	buffer_store_dword v4, off, s[0:3], 0 offset:432
	buffer_store_byte v41, off, s[0:3], 0 offset:441
	buffer_store_dword v0, off, s[0:3], 0 offset:452
	v_mov_b32_e32 v0, 0x6000
	v_add_u32_e32 v42, s12, v22
	v_mul_lo_u32 v2, v1, s65
	buffer_store_dword v0, off, s[0:3], 0 offset:448
	buffer_store_byte v41, off, s[0:3], 0 offset:457
	v_mul_hi_u32 v0, v42, s67
	v_sub_u32_e32 v5, v22, v2
	v_mul_hi_u32 v2, v1, s66
	v_add_u32_e32 v0, v42, v0
	v_add_u32_e32 v3, v1, v2
	v_lshrrev_b32_e32 v6, s69, v0
	v_mul_lo_u32 v0, v6, s65
	v_lshrrev_b32_e32 v7, s68, v3
	v_sub_u32_e32 v56, v42, v0
	v_lshl_or_b32 v23, s71, 7, v20
	v_mul_lo_u32 v0, v7, s64
	v_sub_u32_e32 v8, v1, v0
	v_mul_hi_u32 v0, v23, s11
	v_add_u32_e32 v0, v23, v0
	v_lshrrev_b32_e32 v0, s5, v0
	s_load_dwordx2 s[14:15], s[6:7], 0x94
	s_load_dword s84, s[6:7], 0x150
	v_mul_hi_u32 v1, v0, s10
	v_add_u32_e32 v1, v0, v1
	v_lshrrev_b32_e32 v1, s4, v1
	s_load_dwordx2 s[4:5], s[6:7], 0x84
	s_load_dword s10, s[6:7], 0x78
	s_waitcnt lgkmcnt(0)
	v_mul_lo_u32 v3, v1, s14
	v_mul_lo_u32 v4, v0, s15
	v_sub_u32_e32 v3, v0, v3
	v_sub_u32_e32 v9, v23, v4
	v_mul_lo_u32 v4, v7, s62
	v_mul_lo_u32 v0, v8, s4
	v_mad_u64_u32 v[16:17], s[10:11], v3, s10, v[4:5]
	v_mad_u64_u32 v[18:19], s[10:11], v9, s5, v[0:1]
	v_subrev_u32_e32 v3, s37, v16
	v_mul_lo_u32 v2, v5, s43
	v_subrev_u32_e32 v0, s60, v18
	v_mul_lo_u32 v3, v3, s41
	v_mul_lo_u32 v4, v1, s40
	v_mad_u64_u32 v[0:1], s[10:11], v0, s42, v[2:3]
	v_add3_u32 v9, v0, v4, v3
	v_sub_u32_e32 v4, v56, v5
	v_mul_hi_u32 v5, v6, s66
	v_add_u32_e32 v5, v6, v5
	v_lshrrev_b32_e32 v57, s68, v5
	s_mov_b32 s47, 0x20000
	v_mul_lo_u32 v5, v57, s64
	buffer_load_dwordx4 v[0:3], v9, s[44:47], 0 offen
	v_sub_u32_e32 v58, v6, v5
	v_sub_u32_e32 v5, v57, v7
	;; [unrolled: 1-line block ×3, first 2 shown]
	s_mul_i32 s8, s8, s51
	v_mul_lo_u32 v17, v6, s4
	v_mul_lo_u32 v19, v5, s62
	;; [unrolled: 1-line block ×4, first 2 shown]
	v_mad_u64_u32 v[4:5], s[10:11], v19, s41, v[4:5]
	s_add_i32 s72, s72, s8
	v_add3_u32 v36, v4, v6, v9
	buffer_load_dwordx4 v[4:7], v36, s[44:47], 0 offen
	v_lshl_or_b32 v24, s72, 7, v20
	v_mul_lo_u32 v25, s59, v21
	v_mul_lo_u32 v43, v24, s33
	v_add_u32_e32 v12, v43, v25
	s_mov_b32 s51, s47
	buffer_load_dwordx4 v[8:11], v12, s[48:51], 0 offen
	s_lshl_b32 s13, s59, 2
	v_add_u32_e32 v12, s13, v12
	buffer_load_dwordx4 v[12:15], v12, s[48:51], 0 offen
	s_load_dwordx2 s[34:35], s[6:7], 0x1e8
	s_load_dword s33, s[6:7], 0x1f4
	s_load_dword s5, s[6:7], 0x200
	s_sub_i32 s61, s39, s61
	s_mov_b32 s92, s4
	v_cmp_gt_i32_e64 s[10:11], s61, v18
	v_cmp_gt_i32_e32 vcc, s76, v22
	s_waitcnt lgkmcnt(0)
	v_writelane_b32 v111, s5, 5
	s_mul_i32 s5, s30, s73
	v_writelane_b32 v111, s5, 6
	v_cmp_le_i32_e64 s[4:5], s60, v18
	s_sub_i32 s36, s36, s38
	s_and_b64 s[4:5], s[4:5], s[10:11]
	s_and_b64 s[10:11], vcc, s[4:5]
	v_cmp_le_i32_e32 vcc, s37, v16
	v_cmp_gt_i32_e64 s[4:5], s36, v16
	s_and_b64 s[4:5], vcc, s[4:5]
	v_cmp_gt_i32_e64 s[8:9], s9, v23
	s_and_b64 s[4:5], s[10:11], s[4:5]
	v_add_u32_e32 v35, v18, v17
	s_and_b64 vcc, s[8:9], s[4:5]
	v_cmp_le_i32_e64 s[4:5], s60, v35
	v_cmp_gt_i32_e64 s[10:11], s61, v35
	v_add_u32_e32 v38, v16, v19
	s_and_b64 s[4:5], s[4:5], s[10:11]
	v_lshlrev_b32_e32 v20, 2, v20
	s_mov_b32 s93, 0x3020104
	v_lshl_or_b32 v34, v21, 9, v20
	v_add_u32_e32 v16, s13, v25
	s_mov_b64 s[52:53], src_private_base
	s_mov_b32 s85, s41
	s_mov_b32 s86, s42
	;; [unrolled: 1-line block ×4, first 2 shown]
	s_movk_i32 s52, 0x90
	s_mov_b32 s77, s53
	s_movk_i32 s81, 0x190
	s_mov_b32 s82, s53
	;; [unrolled: 2-line block ×5, first 2 shown]
	s_mov_b32 s94, 0
	s_mov_b32 s95, s53
	;; [unrolled: 1-line block ×4, first 2 shown]
	s_sub_i32 s98, s70, 32
	s_lshl_b32 s99, s59, 5
	s_sub_i32 s40, 0, s65
	s_movk_i32 s32, 0x7800
	s_waitcnt vmcnt(3)
	v_cndmask_b32_e32 v3, 0, v3, vcc
	v_cndmask_b32_e32 v2, 0, v2, vcc
	;; [unrolled: 1-line block ×4, first 2 shown]
	v_cmp_gt_i32_e32 vcc, s76, v42
	s_and_b64 s[10:11], vcc, s[4:5]
	v_cmp_le_i32_e32 vcc, s37, v38
	v_cmp_gt_i32_e64 s[4:5], s36, v38
	s_and_b64 s[4:5], vcc, s[4:5]
	s_and_b64 s[4:5], s[10:11], s[4:5]
	s_and_b64 vcc, s[8:9], s[4:5]
	v_perm_b32 v0, v0, v0, s93
	v_cmp_gt_i32_e64 s[10:11], s83, v24
	s_waitcnt vmcnt(2)
	v_cndmask_b32_e32 v7, 0, v7, vcc
	v_cndmask_b32_e32 v6, 0, v6, vcc
	;; [unrolled: 1-line block ×4, first 2 shown]
	v_cmp_gt_i32_e32 vcc, s84, v25
	ds_write2st64_b32 v34, v0, v1 offset1:2
	v_perm_b32 v0, v2, v2, s93
	s_and_b64 vcc, vcc, s[10:11]
	ds_write2st64_b32 v34, v0, v3 offset0:4 offset1:6
	v_perm_b32 v0, v4, v4, s93
	s_waitcnt vmcnt(1)
	v_cndmask_b32_e32 v11, 0, v11, vcc
	v_cndmask_b32_e32 v10, 0, v10, vcc
	;; [unrolled: 1-line block ×4, first 2 shown]
	v_cmp_gt_i32_e32 vcc, s84, v16
	ds_write2st64_b32 v34, v0, v5 offset0:8 offset1:10
	v_perm_b32 v0, v6, v6, s93
	s_and_b64 vcc, vcc, s[10:11]
	ds_write2st64_b32 v34, v0, v7 offset0:12 offset1:14
	v_perm_b32 v0, v8, v8, s93
	s_waitcnt vmcnt(0)
	v_cndmask_b32_e32 v12, 0, v12, vcc
	ds_write2st64_b32 v34, v0, v9 offset0:64 offset1:66
	v_perm_b32 v0, v10, v10, s93
	v_cndmask_b32_e32 v14, 0, v14, vcc
	v_cndmask_b32_e32 v13, 0, v13, vcc
	ds_write2st64_b32 v34, v0, v11 offset0:68 offset1:70
	v_perm_b32 v0, v12, v12, s93
	v_cndmask_b32_e32 v15, 0, v15, vcc
	ds_write2st64_b32 v34, v0, v13 offset0:72 offset1:74
	v_perm_b32 v0, v14, v14, s93
	ds_write2st64_b32 v34, v0, v15 offset0:76 offset1:78
	s_load_dwordx2 s[38:39], s[6:7], 0x1d8
	s_load_dwordx2 s[26:27], s[6:7], 0x228
	v_or_b32_e32 v0, 36, v21
	v_or_b32_e32 v1, 32, v21
	;; [unrolled: 1-line block ×4, first 2 shown]
	s_mul_i32 s4, s58, 12
	v_mul_lo_u32 v48, s58, v3
	v_mul_lo_u32 v49, s58, v2
	;; [unrolled: 1-line block ×8, first 2 shown]
	s_lshl_b32 s83, s58, 5
	s_add_i32 s70, s12, s4
	v_mov_b32_e32 v52, v51
	v_mov_b32_e32 v53, v50
	;; [unrolled: 1-line block ×4, first 2 shown]
	s_mov_b32 s58, 0
	s_mov_b32 s59, 0
	s_getpc_b64 s[54:55]
	s_add_u32 s54, s54, _ZNK2ck6detail15static_for_implINS_8SequenceIJLi1ELi2ELi3ELi4ELi5ELi6ELi7ELi8ELi9ELi10ELi11ELi12ELi13ELi14ELi15EEEEEclIZNKS_80BlockwiseGemmDl_A_BK0_BM_BK1_B_BK0_BN_BK1_C_BM0_BM1_BN0_BN1_pipeline_BM0_2_BN0_2ILi256EaaiKNS_16TensorDescriptorINS_5TupleIJNS_5EmbedINS8_IJNS_17integral_constantIiLi16EEENSA_IiLi128EEENSA_IiLi4EEEEEENS8_IJNSA_IiLi512EEESD_NSA_IiLi1EEEEEELb0EEEEEENS8_IJNS2_IJLi0EEEEEEENS8_IJNS2_IJLi1ELi2ELi3EEEEEEESM_NSA_IlLl8192EEEEESQ_Li4ELi4ELi1ENS2_IJLi8ELi2EEEESR_Li4ELi4ELb0EE3RunINS7_INS8_IJNS_7UnMergeINS8_IJNSA_IiLi2EEESD_SV_SD_EEELb0EEEEEESL_NS8_IJNS2_IJLi1ELi2ELi3ELi4EEEEEEESZ_NSA_IlLl64EEEEENS_13DynamicBufferILNS_16AddressSpaceEnumE2EaSO_Lb1ELNS_22AmdBufferCoherenceEnumE0EiEES16_NS_12StaticBufferILS14_4EiLi64ELb1EEEEEvRKT_RKT0_RKT1_RT2_EUlS19_E_EEvS19_@rel32@lo+4
	s_addc_u32 s55, s55, _ZNK2ck6detail15static_for_implINS_8SequenceIJLi1ELi2ELi3ELi4ELi5ELi6ELi7ELi8ELi9ELi10ELi11ELi12ELi13ELi14ELi15EEEEEclIZNKS_80BlockwiseGemmDl_A_BK0_BM_BK1_B_BK0_BN_BK1_C_BM0_BM1_BN0_BN1_pipeline_BM0_2_BN0_2ILi256EaaiKNS_16TensorDescriptorINS_5TupleIJNS_5EmbedINS8_IJNS_17integral_constantIiLi16EEENSA_IiLi128EEENSA_IiLi4EEEEEENS8_IJNSA_IiLi512EEESD_NSA_IiLi1EEEEEELb0EEEEEENS8_IJNS2_IJLi0EEEEEEENS8_IJNS2_IJLi1ELi2ELi3EEEEEEESM_NSA_IlLl8192EEEEESQ_Li4ELi4ELi1ENS2_IJLi8ELi2EEEESR_Li4ELi4ELb0EE3RunINS7_INS8_IJNS_7UnMergeINS8_IJNSA_IiLi2EEESD_SV_SD_EEELb0EEEEEESL_NS8_IJNS2_IJLi1ELi2ELi3ELi4EEEEEEESZ_NSA_IlLl64EEEEENS_13DynamicBufferILNS_16AddressSpaceEnumE2EaSO_Lb1ELNS_22AmdBufferCoherenceEnumE0EiEES16_NS_12StaticBufferILS14_4EiLi64ELb1EEEEEvRKT_RKT0_RKT1_RT2_EUlS19_E_EEvS19_@rel32@hi+12
.LBB7_1:                                ; =>This Inner Loop Header: Depth=1
	v_mul_hi_u32 v0, s67, v55
	v_add_u32_e32 v17, s87, v48
	v_add_u32_e32 v8, v17, v0
	v_mul_hi_u32 v1, s67, v54
	v_add_u32_e32 v16, s87, v49
	v_lshrrev_b32_e32 v11, s69, v8
	v_add_u32_e32 v9, v16, v1
	v_mul_lo_u32 v8, s40, v11
	v_lshrrev_b32_e32 v12, s69, v9
	v_mul_hi_u32 v9, v11, s66
	v_add_u32_e32 v13, v17, v8
	v_sub_u32_e32 v8, v8, v56
	v_mul_hi_u32 v10, v12, s66
	v_add_u32_e32 v9, v11, v9
	v_add_u32_e32 v8, v17, v8
	;; [unrolled: 1-line block ×3, first 2 shown]
	v_lshrrev_b32_e32 v14, s68, v9
	v_mad_u64_u32 v[8:9], s[4:5], v8, s43, v[36:37]
	v_mad_u64_u32 v[18:19], s[4:5], s40, v12, v[16:17]
	v_lshrrev_b32_e32 v60, s68, v10
	v_mul_lo_u32 v9, v14, s64
	v_sub_u32_e32 v13, v18, v13
	v_mul_lo_u32 v15, v60, s64
	v_sub_u32_e32 v9, v11, v9
	;; [unrolled: 2-line block ×3, first 2 shown]
	v_sub_u32_e32 v14, v60, v14
	v_sub_u32_e32 v61, v12, v15
	;; [unrolled: 1-line block ×3, first 2 shown]
	v_mul_lo_u32 v19, v13, s62
	v_mul_lo_u32 v57, v14, s62
	v_sub_u32_e32 v9, v61, v9
	v_mul_lo_u32 v58, v12, s92
	v_mul_lo_u32 v13, v19, s41
	v_mad_u64_u32 v[10:11], s[4:5], v57, s41, v[10:11]
	v_mul_lo_u32 v64, v9, s92
	v_mul_lo_u32 v9, v58, s42
	v_add_u32_e32 v2, v47, v43
	v_add_u32_e32 v3, v46, v43
	v_mul_lo_u32 v11, v64, s42
	v_add3_u32 v8, v8, v13, v9
	buffer_load_dwordx4 v[4:7], v2, s[48:51], 0 offen
	s_nop 0
	buffer_load_dwordx4 v[0:3], v3, s[48:51], 0 offen
	v_add3_u32 v62, v10, v8, v11
	buffer_load_dwordx4 v[8:11], v8, s[44:47], 0 offen
	s_nop 0
	buffer_load_dwordx4 v[12:15], v62, s[44:47], 0 offen
	s_waitcnt lgkmcnt(0)
	s_barrier
	buffer_load_dword v20, off, s[0:3], 0 offset:80
	buffer_load_dword v21, off, s[0:3], 0 offset:400
	;; [unrolled: 1-line block ×3, first 2 shown]
	s_nop 0
	buffer_store_dword v41, off, s[0:3], 0
	buffer_store_dword v41, off, s[0:3], 0 offset:4
	buffer_store_dword v41, off, s[0:3], 0 offset:8
	;; [unrolled: 1-line block ×15, first 2 shown]
	buffer_load_dword v24, off, s[0:3], 0 offset:112
	buffer_load_dword v25, off, s[0:3], 0 offset:416
	;; [unrolled: 1-line block ×14, first 2 shown]
	v_mul_hi_u32 v33, s67, v53
	v_mul_hi_u32 v36, s67, v52
	v_add_u32_e32 v32, s87, v50
	v_add_u32_e32 v40, s87, v51
	;; [unrolled: 1-line block ×3, first 2 shown]
	v_cmp_gt_i32_e64 s[4:5], s76, v16
	v_add_u32_e32 v16, v32, v33
	s_add_i32 s18, s70, s70
	v_cmp_gt_i32_e64 s[16:17], s84, v83
	v_lshrrev_b32_e32 v83, s69, v16
	v_cmp_gt_i32_e64 s[12:13], s76, v32
	v_add_u32_e32 v42, s18, v42
	v_add_u32_e32 v56, s58, v47
	v_cmp_gt_i32_e64 s[14:15], s84, v56
	s_and_b64 s[16:17], s[10:11], s[16:17]
	s_and_b64 s[14:15], s[10:11], s[14:15]
	v_add_u32_e32 v59, s58, v45
	v_add_u32_e32 v63, v45, v43
	s_waitcnt vmcnt(0)
	v_ashrrev_i32_e32 v27, 31, v24
	v_cndmask_b32_e64 v96, 0, v5, s[14:15]
	v_cndmask_b32_e64 v98, 0, v1, s[16:17]
	;; [unrolled: 1-line block ×4, first 2 shown]
	v_ashrrev_i32_e32 v23, 31, v20
	v_add_co_u32_e32 v28, vcc, v21, v20
	v_addc_co_u32_e32 v29, vcc, v22, v23, vcc
	flat_load_dwordx4 v[20:23], v[28:29]
	s_waitcnt vmcnt(0)
	v_add_co_u32_e32 v30, vcc, v25, v24
	buffer_load_dword v76, off, s[0:3], 0 offset:212
	buffer_load_dword v77, off, s[0:3], 0 offset:192
	;; [unrolled: 1-line block ×7, first 2 shown]
	v_addc_co_u32_e32 v31, vcc, v26, v27, vcc
	v_cmp_gt_i32_e32 vcc, s76, v17
	v_add_u32_e32 v17, v40, v36
	v_lshrrev_b32_e32 v84, s69, v17
	v_mad_u64_u32 v[16:17], s[18:19], s40, v83, v[32:33]
	v_mad_u64_u32 v[32:33], s[18:19], s40, v84, v[40:41]
	v_mul_hi_u32 v17, v83, s66
	v_mul_lo_u32 v36, v84, s65
	v_sub_u32_e32 v18, v16, v18
	v_sub_u32_e32 v86, v32, v16
	v_add_u32_e32 v16, v19, v38
	v_add_u32_e32 v85, v83, v17
	v_sub_u32_e32 v56, v42, v36
	v_mul_lo_u32 v36, v18, s43
	v_cmp_le_i32_e64 s[18:19], s37, v16
	v_cmp_gt_i32_e64 s[20:21], s36, v16
	v_add_u32_e32 v38, v57, v16
	v_mul_hi_u32 v33, v84, s66
	v_add_u32_e32 v32, v58, v35
	v_add_u32_e32 v87, v84, v33
	v_cmp_le_i32_e64 s[22:23], s60, v32
	v_cmp_gt_i32_e64 s[24:25], s61, v32
	v_add_u32_e32 v35, v64, v32
	v_cndmask_b32_e64 v97, 0, v3, s[16:17]
	v_perm_b32 v101, v0, v0, s93
	v_perm_b32 v102, v1, v1, s93
	s_and_b64 s[30:31], s[18:19], s[20:21]
	v_cmp_le_i32_e64 s[18:19], s37, v38
	v_cmp_gt_i32_e64 s[20:21], s36, v38
	s_and_b64 s[56:57], s[18:19], s[20:21]
	s_and_b64 s[22:23], s[22:23], s[24:25]
	v_cmp_le_i32_e64 s[18:19], s60, v35
	v_cmp_gt_i32_e64 s[20:21], s61, v35
	s_and_b64 s[22:23], vcc, s[22:23]
	s_and_b64 s[18:19], s[18:19], s[20:21]
	s_waitcnt lgkmcnt(0)
	buffer_store_dword v20, off, s[0:3], 0
	buffer_store_dword v21, off, s[0:3], 0 offset:4
	buffer_store_dword v22, off, s[0:3], 0 offset:8
	;; [unrolled: 1-line block ×3, first 2 shown]
	flat_load_dwordx4 v[24:27], v[30:31]
	s_and_b64 s[20:21], s[30:31], s[22:23]
	s_and_b64 s[4:5], s[4:5], s[18:19]
	s_and_b64 vcc, s[8:9], s[20:21]
	s_and_b64 s[4:5], s[56:57], s[4:5]
	v_cndmask_b32_e64 v5, 0, v6, s[14:15]
	v_cndmask_b32_e64 v4, 0, v4, s[14:15]
	s_and_b64 s[4:5], s[8:9], s[4:5]
	v_cndmask_b32_e64 v95, 0, v7, s[14:15]
	v_perm_b32 v99, v4, v4, s93
	v_perm_b32 v100, v5, v5, s93
	v_cndmask_b32_e32 v103, 0, v11, vcc
	v_cndmask_b32_e32 v104, 0, v10, vcc
	;; [unrolled: 1-line block ×4, first 2 shown]
	v_mov_b32_e32 v4, s94
	v_mov_b32_e32 v5, s95
	;; [unrolled: 1-line block ×8, first 2 shown]
	v_cndmask_b32_e64 v107, 0, v15, s[4:5]
	v_cndmask_b32_e64 v108, 0, v14, s[4:5]
	;; [unrolled: 1-line block ×4, first 2 shown]
	s_waitcnt vmcnt(0) lgkmcnt(0)
	buffer_store_dword v24, off, s[0:3], 0 offset:32
	buffer_store_dword v25, off, s[0:3], 0 offset:36
	;; [unrolled: 1-line block ×4, first 2 shown]
	flat_load_dwordx4 v[16:19], v[30:31] offset:256
	s_nop 0
	buffer_load_dword v30, off, s[0:3], 0 offset:216
	buffer_load_dword v31, off, s[0:3], 0 offset:220
	;; [unrolled: 1-line block ×14, first 2 shown]
	v_dot4c_i32_i8_e32 v68, v20, v24
	v_dot4c_i32_i8_e32 v65, v20, v25
	;; [unrolled: 1-line block ×10, first 2 shown]
	s_waitcnt vmcnt(0) lgkmcnt(0)
	buffer_store_dword v16, off, s[0:3], 0 offset:48
	buffer_store_dword v17, off, s[0:3], 0 offset:52
	;; [unrolled: 1-line block ×4, first 2 shown]
	flat_load_dwordx4 v[0:3], v[28:29] offset:256
	v_dot4c_i32_i8_e32 v30, v22, v26
	v_dot4c_i32_i8_e32 v31, v22, v27
	;; [unrolled: 1-line block ×22, first 2 shown]
	buffer_store_dword v68, off, s[0:3], 0 offset:144
	buffer_store_dword v65, off, s[0:3], 0 offset:148
	;; [unrolled: 1-line block ×32, first 2 shown]
	s_waitcnt vmcnt(0) lgkmcnt(0)
	buffer_store_dword v0, off, s[0:3], 0 offset:16
	buffer_store_dword v1, off, s[0:3], 0 offset:20
	;; [unrolled: 1-line block ×4, first 2 shown]
	v_mov_b32_e32 v0, s80
	v_mov_b32_e32 v1, s53
	;; [unrolled: 1-line block ×4, first 2 shown]
	s_swappc_b64 s[30:31], s[54:55]
	buffer_load_dword v0, off, s[0:3], 0 offset:32
	buffer_load_dword v1, off, s[0:3], 0 offset:36
	buffer_load_dword v2, off, s[0:3], 0 offset:40
	buffer_load_dword v3, off, s[0:3], 0 offset:44
	buffer_load_dword v4, off, s[0:3], 0 offset:16
	buffer_load_dword v5, off, s[0:3], 0 offset:20
	buffer_load_dword v6, off, s[0:3], 0 offset:272
	buffer_load_dword v7, off, s[0:3], 0 offset:276
	buffer_load_dword v8, off, s[0:3], 0 offset:280
	buffer_load_dword v9, off, s[0:3], 0 offset:284
	buffer_load_dword v10, off, s[0:3], 0 offset:304
	buffer_load_dword v11, off, s[0:3], 0 offset:308
	buffer_load_dword v12, off, s[0:3], 0 offset:312
	buffer_load_dword v13, off, s[0:3], 0 offset:316
	buffer_load_dword v14, off, s[0:3], 0 offset:24
	buffer_load_dword v15, off, s[0:3], 0 offset:336
	buffer_load_dword v16, off, s[0:3], 0 offset:340
	buffer_load_dword v17, off, s[0:3], 0 offset:344
	buffer_load_dword v18, off, s[0:3], 0 offset:348
	buffer_load_dword v19, off, s[0:3], 0 offset:28
	buffer_load_dword v20, off, s[0:3], 0 offset:368
	buffer_load_dword v21, off, s[0:3], 0 offset:372
	buffer_load_dword v22, off, s[0:3], 0 offset:376
	buffer_load_dword v23, off, s[0:3], 0 offset:380
	buffer_load_dword v24, off, s[0:3], 0 offset:48
	buffer_load_dword v25, off, s[0:3], 0 offset:60
	buffer_load_dword v26, off, s[0:3], 0 offset:56
	buffer_load_dword v27, off, s[0:3], 0 offset:52
	buffer_load_dword v28, off, s[0:3], 0 offset:288
	buffer_load_dword v29, off, s[0:3], 0 offset:292
	buffer_load_dword v30, off, s[0:3], 0 offset:296
	buffer_load_dword v31, off, s[0:3], 0 offset:300
	buffer_load_dword v32, off, s[0:3], 0 offset:320
	buffer_load_dword v33, off, s[0:3], 0 offset:324
	buffer_load_dword v57, off, s[0:3], 0 offset:328
	buffer_load_dword v58, off, s[0:3], 0 offset:332
	buffer_load_dword v64, off, s[0:3], 0 offset:352
	buffer_load_dword v65, off, s[0:3], 0 offset:356
	buffer_load_dword v66, off, s[0:3], 0 offset:360
	buffer_load_dword v67, off, s[0:3], 0 offset:364
	buffer_load_dword v68, off, s[0:3], 0 offset:384
	buffer_load_dword v69, off, s[0:3], 0 offset:388
	buffer_load_dword v70, off, s[0:3], 0 offset:392
	buffer_load_dword v71, off, s[0:3], 0 offset:396
	buffer_load_dword v72, off, s[0:3], 0 offset:436
	buffer_load_dword v73, off, s[0:3], 0 offset:432
	s_waitcnt vmcnt(39)
	v_dot4c_i32_i8_e32 v6, v4, v0
	s_waitcnt vmcnt(38)
	v_dot4c_i32_i8_e32 v7, v4, v1
	;; [unrolled: 2-line block ×15, first 2 shown]
	v_perm_b32 v2, v106, v106, s93
	s_waitcnt vmcnt(22)
	v_dot4c_i32_i8_e32 v23, v19, v3
	s_waitcnt vmcnt(17)
	v_dot4c_i32_i8_e32 v28, v4, v24
	;; [unrolled: 2-line block ×17, first 2 shown]
	buffer_store_dword v6, off, s[0:3], 0 offset:272
	buffer_store_dword v7, off, s[0:3], 0 offset:276
	;; [unrolled: 1-line block ×18, first 2 shown]
	s_waitcnt vmcnt(18)
	v_add_co_u32_e32 v0, vcc, v73, v34
	v_addc_co_u32_e32 v1, vcc, 0, v72, vcc
	buffer_store_dword v30, off, s[0:3], 0 offset:296
	buffer_store_dword v31, off, s[0:3], 0 offset:300
	;; [unrolled: 1-line block ×14, first 2 shown]
	flat_store_dword v[0:1], v2
	flat_store_dword v[0:1], v105 offset:512
	v_perm_b32 v2, v104, v104, s93
	flat_store_dword v[0:1], v2 offset:1024
	flat_store_dword v[0:1], v103 offset:1536
	v_perm_b32 v2, v110, v110, s93
	flat_store_dword v[0:1], v2 offset:2048
	flat_store_dword v[0:1], v109 offset:2560
	v_perm_b32 v2, v108, v108, s93
	flat_store_dword v[0:1], v2 offset:3072
	flat_store_dword v[0:1], v107 offset:3584
	buffer_load_dword v20, off, s[0:3], 0 offset:448
	buffer_load_dword v21, off, s[0:3], 0 offset:452
	v_lshrrev_b32_e32 v1, s68, v85
	v_lshrrev_b32_e32 v57, s68, v87
	v_mul_lo_u32 v2, v1, s64
	v_sub_u32_e32 v3, v1, v60
	v_mul_lo_u32 v4, v57, s64
	v_sub_u32_e32 v1, v57, v1
	v_sub_u32_e32 v5, v83, v2
	v_mul_lo_u32 v30, v3, s62
	v_mul_lo_u32 v0, v86, s43
	v_sub_u32_e32 v58, v84, v4
	v_mul_lo_u32 v31, v1, s62
	v_sub_u32_e32 v4, v5, v61
	v_mad_u64_u32 v[2:3], s[4:5], v30, s41, v[36:37]
	v_sub_u32_e32 v3, v58, v5
	v_mad_u64_u32 v[0:1], s[4:5], v31, s85, v[0:1]
	v_mul_lo_u32 v32, v4, s92
	v_mul_lo_u32 v33, v3, s92
	;; [unrolled: 1-line block ×4, first 2 shown]
	v_add3_u32 v2, v2, v1, v62
	v_add3_u32 v36, v0, v3, v2
	v_add_u32_e32 v8, v44, v43
	v_add_u32_e32 v30, v30, v38
	v_cmp_le_i32_e64 s[16:17], s37, v30
	v_cmp_gt_i32_e64 s[18:19], s36, v30
	v_add_u32_e32 v38, v31, v30
	v_add_u32_e32 v30, v32, v35
	v_cmp_le_i32_e64 s[20:21], s60, v30
	v_cmp_gt_i32_e64 s[22:23], s61, v30
	s_and_b64 s[24:25], s[16:17], s[18:19]
	v_cmp_le_i32_e64 s[16:17], s37, v38
	v_cmp_gt_i32_e64 s[18:19], s36, v38
	v_add_u32_e32 v35, v33, v30
	s_and_b64 s[20:21], s[20:21], s[22:23]
	s_and_b64 s[30:31], s[16:17], s[18:19]
	v_cmp_le_i32_e64 s[16:17], s60, v35
	v_cmp_gt_i32_e64 s[18:19], s61, v35
	s_and_b64 s[12:13], s[12:13], s[20:21]
	s_and_b64 s[16:17], s[16:17], s[18:19]
	;; [unrolled: 1-line block ×3, first 2 shown]
	v_cmp_gt_i32_e64 s[4:5], s84, v59
	v_add_u32_e32 v59, s58, v44
	v_cmp_gt_i32_e64 s[14:15], s84, v59
	s_waitcnt vmcnt(0)
	v_add_co_u32_e32 v0, vcc, v20, v34
	v_addc_co_u32_e32 v1, vcc, 0, v21, vcc
	flat_store_dword v[0:1], v99
	flat_store_dword v[0:1], v96 offset:512
	flat_store_dword v[0:1], v100 offset:1024
	;; [unrolled: 1-line block ×7, first 2 shown]
	buffer_load_dwordx4 v[0:3], v2, s[44:47], 0 offen
	s_nop 0
	buffer_load_dwordx4 v[4:7], v36, s[44:47], 0 offen
	buffer_load_dwordx4 v[12:15], v63, s[48:51], 0 offen
	s_nop 0
	buffer_load_dwordx4 v[8:11], v8, s[48:51], 0 offen
	s_waitcnt lgkmcnt(0)
	s_barrier
	buffer_load_dword v16, off, s[0:3], 0 offset:80
	s_nop 0
	buffer_store_dword v41, off, s[0:3], 0
	buffer_store_dword v41, off, s[0:3], 0 offset:4
	buffer_store_dword v41, off, s[0:3], 0 offset:8
	;; [unrolled: 1-line block ×15, first 2 shown]
	buffer_load_dword v22, off, s[0:3], 0 offset:112
	buffer_load_dword v60, off, s[0:3], 0 offset:160
	;; [unrolled: 1-line block ×5, first 2 shown]
	s_waitcnt vmcnt(0)
	v_ashrrev_i32_e32 v23, 31, v22
	v_ashrrev_i32_e32 v17, 31, v16
	v_add_co_u32_e32 v28, vcc, v73, v16
	v_addc_co_u32_e32 v29, vcc, v72, v17, vcc
	flat_load_dwordx4 v[16:19], v[28:29]
	v_add_co_u32_e32 v24, vcc, v20, v22
	buffer_load_dword v64, off, s[0:3], 0 offset:192
	buffer_load_dword v65, off, s[0:3], 0 offset:196
	;; [unrolled: 1-line block ×3, first 2 shown]
	v_addc_co_u32_e32 v25, vcc, v21, v23, vcc
	v_cmp_gt_i32_e32 vcc, s76, v40
	s_and_b64 s[16:17], vcc, s[16:17]
	s_and_b64 vcc, s[8:9], s[12:13]
	v_cndmask_b32_e32 v59, 0, v3, vcc
	v_cndmask_b32_e32 v91, 0, v2, vcc
	;; [unrolled: 1-line block ×4, first 2 shown]
	s_and_b64 s[16:17], s[30:31], s[16:17]
	s_and_b64 vcc, s[8:9], s[16:17]
	v_cndmask_b32_e32 v94, 0, v7, vcc
	v_cndmask_b32_e32 v95, 0, v6, vcc
	v_cndmask_b32_e32 v96, 0, v5, vcc
	v_cndmask_b32_e32 v97, 0, v4, vcc
	s_and_b64 vcc, s[10:11], s[4:5]
	v_cndmask_b32_e32 v98, 0, v15, vcc
	v_cndmask_b32_e32 v99, 0, v14, vcc
	v_cndmask_b32_e32 v100, 0, v13, vcc
	v_cndmask_b32_e32 v101, 0, v12, vcc
	;; [unrolled: 5-line block ×3, first 2 shown]
	v_mov_b32_e32 v4, s94
	v_mov_b32_e32 v5, s95
	v_mov_b32_e32 v6, s96
	v_mov_b32_e32 v7, s97
	v_mov_b32_e32 v8, s52
	v_mov_b32_e32 v9, s77
	v_mov_b32_e32 v10, s90
	v_mov_b32_e32 v11, s91
	s_waitcnt vmcnt(0) lgkmcnt(0)
	buffer_store_dword v16, off, s[0:3], 0
	buffer_store_dword v17, off, s[0:3], 0 offset:4
	buffer_store_dword v18, off, s[0:3], 0 offset:8
	;; [unrolled: 1-line block ×3, first 2 shown]
	flat_load_dwordx4 v[20:23], v[24:25]
	s_waitcnt vmcnt(0) lgkmcnt(0)
	buffer_store_dword v20, off, s[0:3], 0 offset:32
	buffer_store_dword v21, off, s[0:3], 0 offset:36
	;; [unrolled: 1-line block ×4, first 2 shown]
	flat_load_dwordx4 v[24:27], v[24:25] offset:256
	s_nop 0
	buffer_load_dword v67, off, s[0:3], 0 offset:144
	buffer_load_dword v68, off, s[0:3], 0 offset:148
	;; [unrolled: 1-line block ×25, first 2 shown]
	v_dot4c_i32_i8_e32 v63, v16, v23
	v_dot4c_i32_i8_e32 v66, v17, v23
	s_waitcnt vmcnt(0) lgkmcnt(0)
	buffer_store_dword v24, off, s[0:3], 0 offset:48
	buffer_store_dword v25, off, s[0:3], 0 offset:52
	;; [unrolled: 1-line block ×4, first 2 shown]
	flat_load_dwordx4 v[0:3], v[28:29] offset:256
	v_dot4c_i32_i8_e32 v67, v16, v20
	v_dot4c_i32_i8_e32 v68, v16, v21
	;; [unrolled: 1-line block ×30, first 2 shown]
	buffer_store_dword v67, off, s[0:3], 0 offset:144
	buffer_store_dword v68, off, s[0:3], 0 offset:148
	;; [unrolled: 1-line block ×32, first 2 shown]
	s_waitcnt vmcnt(0) lgkmcnt(0)
	buffer_store_dword v0, off, s[0:3], 0 offset:16
	buffer_store_dword v1, off, s[0:3], 0 offset:20
	;; [unrolled: 1-line block ×4, first 2 shown]
	v_mov_b32_e32 v0, s80
	v_mov_b32_e32 v1, s53
	v_mov_b32_e32 v2, s88
	v_mov_b32_e32 v3, s89
	s_swappc_b64 s[30:31], s[54:55]
	buffer_load_dword v0, off, s[0:3], 0 offset:32
	buffer_load_dword v1, off, s[0:3], 0 offset:36
	;; [unrolled: 1-line block ×46, first 2 shown]
	s_add_i32 s59, s59, 32
	s_add_i32 s58, s58, s99
	;; [unrolled: 1-line block ×3, first 2 shown]
	v_add_u32_e32 v43, s99, v43
	v_add_u32_e32 v55, s83, v55
	;; [unrolled: 1-line block ×4, first 2 shown]
	s_cmp_lt_i32 s59, s98
	v_add_u32_e32 v52, s83, v52
	s_waitcnt vmcnt(39)
	v_dot4c_i32_i8_e32 v6, v4, v0
	s_waitcnt vmcnt(38)
	v_dot4c_i32_i8_e32 v7, v4, v1
	;; [unrolled: 2-line block ×15, first 2 shown]
	v_perm_b32 v2, v93, v93, s93
	s_waitcnt vmcnt(22)
	v_dot4c_i32_i8_e32 v23, v19, v3
	v_perm_b32 v3, v99, v99, s93
	s_waitcnt vmcnt(17)
	v_dot4c_i32_i8_e32 v28, v4, v24
	s_waitcnt vmcnt(16)
	v_dot4c_i32_i8_e32 v29, v4, v27
	;; [unrolled: 2-line block ×16, first 2 shown]
	buffer_store_dword v6, off, s[0:3], 0 offset:272
	buffer_store_dword v7, off, s[0:3], 0 offset:276
	;; [unrolled: 1-line block ×18, first 2 shown]
	s_waitcnt vmcnt(18)
	v_add_co_u32_e32 v0, vcc, v70, v34
	v_addc_co_u32_e32 v1, vcc, 0, v69, vcc
	buffer_store_dword v30, off, s[0:3], 0 offset:296
	buffer_store_dword v31, off, s[0:3], 0 offset:300
	;; [unrolled: 1-line block ×14, first 2 shown]
	flat_store_dword v[0:1], v2
	flat_store_dword v[0:1], v92 offset:512
	v_perm_b32 v2, v91, v91, s93
	flat_store_dword v[0:1], v2 offset:1024
	flat_store_dword v[0:1], v59 offset:1536
	v_perm_b32 v2, v97, v97, s93
	flat_store_dword v[0:1], v2 offset:2048
	;; [unrolled: 3-line block ×3, first 2 shown]
	flat_store_dword v[0:1], v94 offset:3584
	buffer_load_dword v0, off, s[0:3], 0 offset:416
	s_nop 0
	buffer_load_dword v1, off, s[0:3], 0 offset:420
	v_perm_b32 v2, v101, v101, s93
	v_perm_b32 v4, v105, v105, s93
	;; [unrolled: 1-line block ×3, first 2 shown]
	s_waitcnt vmcnt(0)
	v_add_co_u32_e32 v0, vcc, v0, v34
	v_addc_co_u32_e32 v1, vcc, 0, v1, vcc
	flat_store_dword v[0:1], v2
	flat_store_dword v[0:1], v100 offset:512
	flat_store_dword v[0:1], v3 offset:1024
	;; [unrolled: 1-line block ×7, first 2 shown]
	s_cbranch_scc1 .LBB7_1
; %bb.2:
	s_waitcnt lgkmcnt(0)
	s_barrier
	buffer_load_dword v0, off, s[0:3], 0 offset:80
	buffer_load_dword v1, off, s[0:3], 0 offset:400
	;; [unrolled: 1-line block ×3, first 2 shown]
	v_mov_b32_e32 v34, 0
	buffer_load_dword v4, off, s[0:3], 0 offset:112
	buffer_load_dword v5, off, s[0:3], 0 offset:416
	;; [unrolled: 1-line block ×13, first 2 shown]
	s_nop 0
	buffer_store_dword v34, off, s[0:3], 0
	buffer_store_dword v34, off, s[0:3], 0 offset:4
	buffer_store_dword v34, off, s[0:3], 0 offset:8
	;; [unrolled: 1-line block ×15, first 2 shown]
	s_load_dwordx2 s[6:7], s[6:7], 0x10
	v_readlane_b32 s12, v111, 0
	v_readlane_b32 s4, v111, 6
	;; [unrolled: 1-line block ×3, first 2 shown]
	s_add_u32 s24, s12, s4
	s_mul_i32 s8, s28, s74
	s_mul_hi_u32 s9, s28, s73
	s_mov_b64 s[4:5], src_private_base
	s_mul_i32 s10, s29, s73
	s_addc_u32 s25, s13, s75
	s_add_i32 s4, s9, s8
	s_mul_i32 s11, s28, s73
	s_add_i32 s4, s4, s10
	s_waitcnt lgkmcnt(0)
	s_add_u32 s36, s6, s11
	s_addc_u32 s37, s7, s4
	s_waitcnt vmcnt(0)
	v_ashrrev_i32_e32 v7, 31, v4
	v_ashrrev_i32_e32 v3, 31, v0
	v_add_co_u32_e32 v12, vcc, v1, v0
	v_addc_co_u32_e32 v13, vcc, v2, v3, vcc
	flat_load_dwordx4 v[0:3], v[12:13]
	v_add_co_u32_e32 v8, vcc, v5, v4
	buffer_load_dword v26, off, s[0:3], 0 offset:212
	buffer_load_dword v27, off, s[0:3], 0 offset:192
	;; [unrolled: 1-line block ×6, first 2 shown]
	v_addc_co_u32_e32 v9, vcc, v6, v7, vcc
	s_waitcnt vmcnt(0) lgkmcnt(0)
	buffer_store_dword v0, off, s[0:3], 0
	buffer_store_dword v1, off, s[0:3], 0 offset:4
	buffer_store_dword v2, off, s[0:3], 0 offset:8
	;; [unrolled: 1-line block ×3, first 2 shown]
	flat_load_dwordx4 v[4:7], v[8:9]
	s_waitcnt vmcnt(0) lgkmcnt(0)
	buffer_store_dword v4, off, s[0:3], 0 offset:32
	buffer_store_dword v5, off, s[0:3], 0 offset:36
	;; [unrolled: 1-line block ×4, first 2 shown]
	flat_load_dwordx4 v[8:11], v[8:9] offset:256
	s_nop 0
	buffer_load_dword v32, off, s[0:3], 0 offset:176
	buffer_load_dword v33, off, s[0:3], 0 offset:208
	;; [unrolled: 1-line block ×16, first 2 shown]
	v_dot4c_i32_i8_e32 v19, v0, v4
	v_dot4c_i32_i8_e32 v16, v0, v5
	;; [unrolled: 1-line block ×8, first 2 shown]
	s_waitcnt vmcnt(0) lgkmcnt(0)
	buffer_store_dword v8, off, s[0:3], 0 offset:48
	buffer_store_dword v9, off, s[0:3], 0 offset:52
	;; [unrolled: 1-line block ×4, first 2 shown]
	flat_load_dwordx4 v[12:15], v[12:13] offset:256
	v_dot4c_i32_i8_e32 v32, v1, v4
	v_dot4c_i32_i8_e32 v33, v2, v4
	;; [unrolled: 1-line block ×24, first 2 shown]
	v_mov_b32_e32 v0, s80
	v_mov_b32_e32 v1, s53
	;; [unrolled: 1-line block ×12, first 2 shown]
	buffer_store_dword v19, off, s[0:3], 0 offset:144
	buffer_store_dword v16, off, s[0:3], 0 offset:148
	;; [unrolled: 1-line block ×32, first 2 shown]
	s_waitcnt vmcnt(0) lgkmcnt(0)
	buffer_store_dword v12, off, s[0:3], 0 offset:16
	buffer_store_dword v13, off, s[0:3], 0 offset:20
	;; [unrolled: 1-line block ×4, first 2 shown]
	s_swappc_b64 s[30:31], s[54:55]
	buffer_load_dword v19, off, s[0:3], 0 offset:32
	buffer_load_dword v33, off, s[0:3], 0 offset:36
	;; [unrolled: 1-line block ×57, first 2 shown]
	v_readlane_b32 s12, v111, 2
	v_readlane_b32 s13, v111, 3
	s_mov_b32 s39, 0x20000
	v_readlane_b32 s11, v111, 4
	s_lshl_b32 s10, s13, 6
	s_lshl_b32 s8, s13, 7
	s_add_i32 s9, s10, s12
	s_mov_b32 s27, s39
	s_waitcnt vmcnt(50)
	v_dot4c_i32_i8_e32 v25, v38, v19
	s_waitcnt vmcnt(49)
	v_dot4c_i32_i8_e32 v24, v38, v33
	;; [unrolled: 2-line block ×12, first 2 shown]
	buffer_store_dword v25, off, s[0:3], 0 offset:272
	buffer_store_dword v24, off, s[0:3], 0 offset:276
	;; [unrolled: 1-line block ×12, first 2 shown]
	s_waitcnt vmcnt(48)
	v_dot4c_i32_i8_e32 v0, v42, v19
	s_waitcnt vmcnt(47)
	v_dot4c_i32_i8_e32 v1, v42, v33
	;; [unrolled: 2-line block ×3, first 2 shown]
	v_lshl_add_u32 v35, s71, 7, v39
	s_waitcnt vmcnt(45)
	v_dot4c_i32_i8_e32 v3, v42, v36
	s_waitcnt vmcnt(43)
	v_dot4c_i32_i8_e32 v29, v38, v43
	v_lshl_add_u32 v33, s72, 7, v37
	s_waitcnt vmcnt(41)
	v_dot4c_i32_i8_e32 v30, v38, v44
	v_mul_lo_u32 v36, v35, s12
	s_waitcnt vmcnt(39)
	v_dot4c_i32_i8_e32 v31, v38, v45
	buffer_store_dword v0, off, s[0:3], 0 offset:368
	s_waitcnt vmcnt(38)
	v_dot4c_i32_i8_e32 v32, v38, v46
	s_waitcnt vmcnt(37)
	v_dot4c_i32_i8_e32 v21, v40, v43
	;; [unrolled: 2-line block ×13, first 2 shown]
	buffer_store_dword v1, off, s[0:3], 0 offset:372
	buffer_store_dword v2, off, s[0:3], 0 offset:376
	;; [unrolled: 1-line block ×19, first 2 shown]
	v_mad_u64_u32 v[36:37], s[4:5], v33, s13, v[36:37]
	buffer_load_dword v19, v36, s[36:39], 0 offen
	v_cmp_gt_i32_e64 s[4:5], s11, v33
	v_cmp_gt_i32_e64 s[6:7], s63, v35
	s_and_b64 vcc, s[6:7], s[4:5]
	v_add_u32_e32 v36, s10, v36
	v_add_u32_e32 v41, 64, v33
	s_waitcnt vmcnt(0)
	v_cndmask_b32_e32 v19, 0, v19, vcc
	v_add_u16_sdwa v37, v19, v47 dst_sel:DWORD dst_unused:UNUSED_PAD src0_sel:BYTE_3 src1_sel:DWORD
	v_add_u16_sdwa v38, v19, v48 dst_sel:DWORD dst_unused:UNUSED_PAD src0_sel:WORD_1 src1_sel:DWORD
	v_add_u16_sdwa v39, v19, v49 dst_sel:DWORD dst_unused:UNUSED_PAD src0_sel:BYTE_1 src1_sel:DWORD
	v_add_u16_e32 v19, v19, v50
	v_max_i16_sdwa v40, sext(v19), v34 dst_sel:DWORD dst_unused:UNUSED_PAD src0_sel:BYTE_0 src1_sel:DWORD
	v_max_i16_sdwa v39, sext(v39), v34 dst_sel:DWORD dst_unused:UNUSED_PAD src0_sel:BYTE_0 src1_sel:DWORD
	;; [unrolled: 1-line block ×4, first 2 shown]
	buffer_store_dword v40, off, s[0:3], 0 offset:144
	buffer_store_dword v37, off, s[0:3], 0 offset:156
	;; [unrolled: 1-line block ×4, first 2 shown]
	buffer_load_dword v19, v36, s[36:39], 0 offen
	v_cmp_gt_i32_e32 vcc, s11, v41
	s_and_b64 s[6:7], s[6:7], vcc
	s_sub_i32 s11, s9, s8
	v_add_u32_e32 v36, s11, v36
	s_waitcnt vmcnt(0)
	v_cndmask_b32_e64 v19, 0, v19, s[6:7]
	v_add_u16_e32 v42, v19, v52
	v_add_u16_sdwa v43, v19, v53 dst_sel:DWORD dst_unused:UNUSED_PAD src0_sel:BYTE_3 src1_sel:DWORD
	v_add_u16_sdwa v44, v19, v58 dst_sel:DWORD dst_unused:UNUSED_PAD src0_sel:WORD_1 src1_sel:DWORD
	v_add_u16_sdwa v19, v19, v51 dst_sel:DWORD dst_unused:UNUSED_PAD src0_sel:BYTE_1 src1_sel:DWORD
	v_max_i16_sdwa v42, sext(v42), v34 dst_sel:DWORD dst_unused:UNUSED_PAD src0_sel:BYTE_0 src1_sel:DWORD
	v_max_i16_sdwa v19, sext(v19), v34 dst_sel:DWORD dst_unused:UNUSED_PAD src0_sel:BYTE_0 src1_sel:DWORD
	;; [unrolled: 1-line block ×4, first 2 shown]
	buffer_store_dword v42, off, s[0:3], 0 offset:160
	buffer_store_dword v43, off, s[0:3], 0 offset:172
	;; [unrolled: 1-line block ×4, first 2 shown]
	buffer_load_dword v19, v36, s[36:39], 0 offen
	v_or_b32_e32 v42, 1, v35
	v_cmp_gt_i32_e64 s[6:7], s63, v42
	s_and_b64 s[8:9], s[6:7], s[4:5]
	v_add_u32_e32 v36, s10, v36
	s_and_b64 s[6:7], s[6:7], vcc
	s_waitcnt vmcnt(0)
	v_cndmask_b32_e64 v19, 0, v19, s[8:9]
	v_add_u16_e32 v43, v19, v54
	v_add_u16_sdwa v44, v19, v57 dst_sel:DWORD dst_unused:UNUSED_PAD src0_sel:BYTE_3 src1_sel:DWORD
	v_add_u16_sdwa v45, v19, v56 dst_sel:DWORD dst_unused:UNUSED_PAD src0_sel:WORD_1 src1_sel:DWORD
	v_add_u16_sdwa v19, v19, v55 dst_sel:DWORD dst_unused:UNUSED_PAD src0_sel:BYTE_1 src1_sel:DWORD
	v_max_i16_sdwa v43, sext(v43), v34 dst_sel:DWORD dst_unused:UNUSED_PAD src0_sel:BYTE_0 src1_sel:DWORD
	v_max_i16_sdwa v19, sext(v19), v34 dst_sel:DWORD dst_unused:UNUSED_PAD src0_sel:BYTE_0 src1_sel:DWORD
	v_max_i16_sdwa v45, sext(v45), v34 dst_sel:DWORD dst_unused:UNUSED_PAD src0_sel:BYTE_0 src1_sel:DWORD
	v_max_i16_sdwa v44, sext(v44), v34 dst_sel:DWORD dst_unused:UNUSED_PAD src0_sel:BYTE_0 src1_sel:DWORD
	buffer_store_dword v43, off, s[0:3], 0 offset:176
	buffer_store_dword v44, off, s[0:3], 0 offset:188
	;; [unrolled: 1-line block ×4, first 2 shown]
	buffer_load_dword v19, v36, s[36:39], 0 offen
	s_nop 0
	buffer_load_dword v43, off, s[0:3], 0 offset:192
	buffer_load_dword v44, off, s[0:3], 0 offset:204
	;; [unrolled: 1-line block ×8, first 2 shown]
	v_add_u32_e32 v36, s11, v36
	s_waitcnt vmcnt(8)
	v_cndmask_b32_e64 v19, 0, v19, s[6:7]
	s_waitcnt vmcnt(7)
	v_add_u16_e32 v43, v19, v43
	s_waitcnt vmcnt(6)
	v_add_u16_sdwa v44, v19, v44 dst_sel:DWORD dst_unused:UNUSED_PAD src0_sel:BYTE_3 src1_sel:DWORD
	s_waitcnt vmcnt(5)
	v_add_u16_sdwa v45, v19, v45 dst_sel:DWORD dst_unused:UNUSED_PAD src0_sel:WORD_1 src1_sel:DWORD
	s_waitcnt vmcnt(4)
	v_add_u16_sdwa v19, v19, v46 dst_sel:DWORD dst_unused:UNUSED_PAD src0_sel:BYTE_1 src1_sel:DWORD
	v_max_i16_sdwa v43, sext(v43), v34 dst_sel:DWORD dst_unused:UNUSED_PAD src0_sel:BYTE_0 src1_sel:DWORD
	v_max_i16_sdwa v19, sext(v19), v34 dst_sel:DWORD dst_unused:UNUSED_PAD src0_sel:BYTE_0 src1_sel:DWORD
	v_max_i16_sdwa v45, sext(v45), v34 dst_sel:DWORD dst_unused:UNUSED_PAD src0_sel:BYTE_0 src1_sel:DWORD
	v_max_i16_sdwa v44, sext(v44), v34 dst_sel:DWORD dst_unused:UNUSED_PAD src0_sel:BYTE_0 src1_sel:DWORD
	buffer_store_dword v43, off, s[0:3], 0 offset:192
	buffer_store_dword v44, off, s[0:3], 0 offset:204
	;; [unrolled: 1-line block ×4, first 2 shown]
	buffer_load_dword v19, v36, s[36:39], 0 offen
	v_or_b32_e32 v43, 2, v35
	v_cmp_gt_i32_e64 s[6:7], s63, v43
	s_and_b64 s[8:9], s[6:7], s[4:5]
	v_add_u32_e32 v36, s10, v36
	s_and_b64 s[6:7], s[6:7], vcc
	s_waitcnt vmcnt(0)
	v_cndmask_b32_e64 v19, 0, v19, s[8:9]
	v_add_u16_e32 v44, v19, v47
	v_add_u16_sdwa v45, v19, v50 dst_sel:DWORD dst_unused:UNUSED_PAD src0_sel:BYTE_3 src1_sel:DWORD
	v_add_u16_sdwa v46, v19, v49 dst_sel:DWORD dst_unused:UNUSED_PAD src0_sel:WORD_1 src1_sel:DWORD
	v_add_u16_sdwa v19, v19, v48 dst_sel:DWORD dst_unused:UNUSED_PAD src0_sel:BYTE_1 src1_sel:DWORD
	v_max_i16_sdwa v44, sext(v44), v34 dst_sel:DWORD dst_unused:UNUSED_PAD src0_sel:BYTE_0 src1_sel:DWORD
	v_max_i16_sdwa v19, sext(v19), v34 dst_sel:DWORD dst_unused:UNUSED_PAD src0_sel:BYTE_0 src1_sel:DWORD
	;; [unrolled: 1-line block ×4, first 2 shown]
	buffer_store_dword v44, off, s[0:3], 0 offset:208
	buffer_store_dword v45, off, s[0:3], 0 offset:220
	;; [unrolled: 1-line block ×4, first 2 shown]
	buffer_load_dword v19, v36, s[36:39], 0 offen
	s_nop 0
	buffer_load_dword v44, off, s[0:3], 0 offset:224
	buffer_load_dword v45, off, s[0:3], 0 offset:236
	buffer_load_dword v46, off, s[0:3], 0 offset:232
	buffer_load_dword v47, off, s[0:3], 0 offset:228
	buffer_load_dword v48, off, s[0:3], 0 offset:240
	buffer_load_dword v49, off, s[0:3], 0 offset:244
	buffer_load_dword v50, off, s[0:3], 0 offset:248
	buffer_load_dword v51, off, s[0:3], 0 offset:252
	v_add_u32_e32 v36, s11, v36
	s_waitcnt vmcnt(8)
	v_cndmask_b32_e64 v19, 0, v19, s[6:7]
	s_waitcnt vmcnt(7)
	v_add_u16_e32 v44, v19, v44
	s_waitcnt vmcnt(6)
	v_add_u16_sdwa v45, v19, v45 dst_sel:DWORD dst_unused:UNUSED_PAD src0_sel:BYTE_3 src1_sel:DWORD
	s_waitcnt vmcnt(5)
	v_add_u16_sdwa v46, v19, v46 dst_sel:DWORD dst_unused:UNUSED_PAD src0_sel:WORD_1 src1_sel:DWORD
	s_waitcnt vmcnt(4)
	v_add_u16_sdwa v19, v19, v47 dst_sel:DWORD dst_unused:UNUSED_PAD src0_sel:BYTE_1 src1_sel:DWORD
	v_max_i16_sdwa v44, sext(v44), v34 dst_sel:DWORD dst_unused:UNUSED_PAD src0_sel:BYTE_0 src1_sel:DWORD
	v_max_i16_sdwa v19, sext(v19), v34 dst_sel:DWORD dst_unused:UNUSED_PAD src0_sel:BYTE_0 src1_sel:DWORD
	;; [unrolled: 1-line block ×4, first 2 shown]
	buffer_store_dword v44, off, s[0:3], 0 offset:224
	buffer_store_dword v45, off, s[0:3], 0 offset:236
	;; [unrolled: 1-line block ×4, first 2 shown]
	buffer_load_dword v19, v36, s[36:39], 0 offen
	v_or_b32_e32 v44, 3, v35
	v_cmp_gt_i32_e64 s[6:7], s63, v44
	s_and_b64 s[8:9], s[6:7], s[4:5]
	v_add_u32_e32 v36, s10, v36
	s_and_b64 s[6:7], s[6:7], vcc
	s_waitcnt vmcnt(0)
	v_cndmask_b32_e64 v19, 0, v19, s[8:9]
	v_add_u16_e32 v45, v19, v48
	v_add_u16_sdwa v46, v19, v51 dst_sel:DWORD dst_unused:UNUSED_PAD src0_sel:BYTE_3 src1_sel:DWORD
	v_add_u16_sdwa v47, v19, v50 dst_sel:DWORD dst_unused:UNUSED_PAD src0_sel:WORD_1 src1_sel:DWORD
	v_add_u16_sdwa v19, v19, v49 dst_sel:DWORD dst_unused:UNUSED_PAD src0_sel:BYTE_1 src1_sel:DWORD
	v_max_i16_sdwa v45, sext(v45), v34 dst_sel:DWORD dst_unused:UNUSED_PAD src0_sel:BYTE_0 src1_sel:DWORD
	v_max_i16_sdwa v19, sext(v19), v34 dst_sel:DWORD dst_unused:UNUSED_PAD src0_sel:BYTE_0 src1_sel:DWORD
	;; [unrolled: 1-line block ×4, first 2 shown]
	buffer_store_dword v45, off, s[0:3], 0 offset:240
	buffer_store_dword v46, off, s[0:3], 0 offset:252
	;; [unrolled: 1-line block ×4, first 2 shown]
	buffer_load_dword v19, v36, s[36:39], 0 offen
	s_nop 0
	buffer_load_dword v45, off, s[0:3], 0 offset:256
	buffer_load_dword v46, off, s[0:3], 0 offset:264
	;; [unrolled: 1-line block ×3, first 2 shown]
	s_mul_i32 s8, s12, 60
	s_add_i32 s11, s11, s8
	v_add_u32_e32 v36, s11, v36
	s_waitcnt vmcnt(3)
	v_cndmask_b32_e64 v19, 0, v19, s[6:7]
	s_waitcnt vmcnt(2)
	v_add_u16_e32 v45, v19, v45
	v_add_u16_sdwa v48, v19, v59 dst_sel:DWORD dst_unused:UNUSED_PAD src0_sel:BYTE_3 src1_sel:DWORD
	s_waitcnt vmcnt(1)
	v_add_u16_sdwa v46, v19, v46 dst_sel:DWORD dst_unused:UNUSED_PAD src0_sel:WORD_1 src1_sel:DWORD
	s_waitcnt vmcnt(0)
	v_add_u16_sdwa v19, v19, v47 dst_sel:DWORD dst_unused:UNUSED_PAD src0_sel:BYTE_1 src1_sel:DWORD
	v_max_i16_sdwa v45, sext(v45), v34 dst_sel:DWORD dst_unused:UNUSED_PAD src0_sel:BYTE_0 src1_sel:DWORD
	v_max_i16_sdwa v19, sext(v19), v34 dst_sel:DWORD dst_unused:UNUSED_PAD src0_sel:BYTE_0 src1_sel:DWORD
	;; [unrolled: 1-line block ×4, first 2 shown]
	buffer_store_dword v45, off, s[0:3], 0 offset:256
	buffer_store_dword v47, off, s[0:3], 0 offset:268
	;; [unrolled: 1-line block ×4, first 2 shown]
	buffer_load_dword v45, v36, s[36:39], 0 offen
	v_add_u32_e32 v19, 64, v35
	v_cmp_gt_i32_e64 s[6:7], s63, v19
	s_and_b64 s[8:9], s[6:7], s[4:5]
	v_add_u32_e32 v46, s10, v36
	s_and_b64 s[6:7], s[6:7], vcc
	s_waitcnt vmcnt(0)
	v_cndmask_b32_e64 v45, 0, v45, s[8:9]
	v_add_u16_e32 v25, v45, v25
	v_add_u16_sdwa v27, v45, v27 dst_sel:DWORD dst_unused:UNUSED_PAD src0_sel:BYTE_3 src1_sel:DWORD
	v_add_u16_sdwa v26, v45, v26 dst_sel:DWORD dst_unused:UNUSED_PAD src0_sel:WORD_1 src1_sel:DWORD
	v_add_u16_sdwa v24, v45, v24 dst_sel:DWORD dst_unused:UNUSED_PAD src0_sel:BYTE_1 src1_sel:DWORD
	v_max_i16_sdwa v25, sext(v25), v34 dst_sel:DWORD dst_unused:UNUSED_PAD src0_sel:BYTE_0 src1_sel:DWORD
	v_max_i16_sdwa v24, sext(v24), v34 dst_sel:DWORD dst_unused:UNUSED_PAD src0_sel:BYTE_0 src1_sel:DWORD
	v_max_i16_sdwa v26, sext(v26), v34 dst_sel:DWORD dst_unused:UNUSED_PAD src0_sel:BYTE_0 src1_sel:DWORD
	v_max_i16_sdwa v27, sext(v27), v34 dst_sel:DWORD dst_unused:UNUSED_PAD src0_sel:BYTE_0 src1_sel:DWORD
	buffer_store_dword v25, off, s[0:3], 0 offset:272
	buffer_store_dword v27, off, s[0:3], 0 offset:284
	;; [unrolled: 1-line block ×4, first 2 shown]
	buffer_load_dword v24, v46, s[36:39], 0 offen
	v_add_u32_e32 v25, s12, v36
	s_waitcnt vmcnt(0)
	v_cndmask_b32_e64 v24, 0, v24, s[6:7]
	v_add_u16_e32 v26, v24, v29
	v_add_u16_sdwa v27, v24, v32 dst_sel:DWORD dst_unused:UNUSED_PAD src0_sel:BYTE_3 src1_sel:DWORD
	v_add_u16_sdwa v29, v24, v31 dst_sel:DWORD dst_unused:UNUSED_PAD src0_sel:WORD_1 src1_sel:DWORD
	v_add_u16_sdwa v24, v24, v30 dst_sel:DWORD dst_unused:UNUSED_PAD src0_sel:BYTE_1 src1_sel:DWORD
	v_max_i16_sdwa v26, sext(v26), v34 dst_sel:DWORD dst_unused:UNUSED_PAD src0_sel:BYTE_0 src1_sel:DWORD
	v_max_i16_sdwa v24, sext(v24), v34 dst_sel:DWORD dst_unused:UNUSED_PAD src0_sel:BYTE_0 src1_sel:DWORD
	;; [unrolled: 1-line block ×4, first 2 shown]
	buffer_store_dword v26, off, s[0:3], 0 offset:288
	buffer_store_dword v27, off, s[0:3], 0 offset:300
	;; [unrolled: 1-line block ×4, first 2 shown]
	buffer_load_dword v26, v25, s[36:39], 0 offen
	v_add_u32_e32 v24, 0x41, v35
	v_cmp_gt_i32_e64 s[6:7], s63, v24
	s_and_b64 s[8:9], s[6:7], s[4:5]
	v_add_u32_e32 v27, s10, v25
	s_and_b64 s[6:7], s[6:7], vcc
	s_waitcnt vmcnt(0)
	v_cndmask_b32_e64 v26, 0, v26, s[8:9]
	v_add_u16_e32 v13, v26, v13
	v_add_u16_sdwa v20, v26, v20 dst_sel:DWORD dst_unused:UNUSED_PAD src0_sel:BYTE_3 src1_sel:DWORD
	v_add_u16_sdwa v18, v26, v18 dst_sel:DWORD dst_unused:UNUSED_PAD src0_sel:WORD_1 src1_sel:DWORD
	v_add_u16_sdwa v12, v26, v12 dst_sel:DWORD dst_unused:UNUSED_PAD src0_sel:BYTE_1 src1_sel:DWORD
	v_max_i16_sdwa v13, sext(v13), v34 dst_sel:DWORD dst_unused:UNUSED_PAD src0_sel:BYTE_0 src1_sel:DWORD
	v_max_i16_sdwa v12, sext(v12), v34 dst_sel:DWORD dst_unused:UNUSED_PAD src0_sel:BYTE_0 src1_sel:DWORD
	;; [unrolled: 1-line block ×4, first 2 shown]
	buffer_store_dword v13, off, s[0:3], 0 offset:304
	buffer_store_dword v20, off, s[0:3], 0 offset:316
	;; [unrolled: 1-line block ×4, first 2 shown]
	buffer_load_dword v12, v27, s[36:39], 0 offen
	v_add_u32_e32 v13, s12, v25
	s_waitcnt vmcnt(0)
	v_cndmask_b32_e64 v12, 0, v12, s[6:7]
	v_add_u16_e32 v18, v12, v21
	v_add_u16_sdwa v20, v12, v28 dst_sel:DWORD dst_unused:UNUSED_PAD src0_sel:BYTE_3 src1_sel:DWORD
	v_add_u16_sdwa v21, v12, v23 dst_sel:DWORD dst_unused:UNUSED_PAD src0_sel:WORD_1 src1_sel:DWORD
	v_add_u16_sdwa v12, v12, v22 dst_sel:DWORD dst_unused:UNUSED_PAD src0_sel:BYTE_1 src1_sel:DWORD
	v_max_i16_sdwa v18, sext(v18), v34 dst_sel:DWORD dst_unused:UNUSED_PAD src0_sel:BYTE_0 src1_sel:DWORD
	v_max_i16_sdwa v12, sext(v12), v34 dst_sel:DWORD dst_unused:UNUSED_PAD src0_sel:BYTE_0 src1_sel:DWORD
	;; [unrolled: 1-line block ×4, first 2 shown]
	buffer_store_dword v18, off, s[0:3], 0 offset:320
	buffer_store_dword v20, off, s[0:3], 0 offset:332
	buffer_store_dword v21, off, s[0:3], 0 offset:328
	buffer_store_dword v12, off, s[0:3], 0 offset:324
	buffer_load_dword v12, v13, s[36:39], 0 offen
	v_add_u32_e32 v18, 0x42, v35
	v_cmp_gt_i32_e64 s[6:7], s63, v18
	s_and_b64 s[8:9], s[6:7], s[4:5]
	v_add_u32_e32 v20, s10, v13
	s_and_b64 s[6:7], s[6:7], vcc
	s_waitcnt vmcnt(0)
	v_cndmask_b32_e64 v12, 0, v12, s[8:9]
	v_add_u16_e32 v8, v12, v8
	v_add_u16_sdwa v11, v12, v11 dst_sel:DWORD dst_unused:UNUSED_PAD src0_sel:BYTE_3 src1_sel:DWORD
	v_add_u16_sdwa v10, v12, v10 dst_sel:DWORD dst_unused:UNUSED_PAD src0_sel:WORD_1 src1_sel:DWORD
	v_add_u16_sdwa v9, v12, v9 dst_sel:DWORD dst_unused:UNUSED_PAD src0_sel:BYTE_1 src1_sel:DWORD
	v_max_i16_sdwa v8, sext(v8), v34 dst_sel:DWORD dst_unused:UNUSED_PAD src0_sel:BYTE_0 src1_sel:DWORD
	v_max_i16_sdwa v9, sext(v9), v34 dst_sel:DWORD dst_unused:UNUSED_PAD src0_sel:BYTE_0 src1_sel:DWORD
	;; [unrolled: 1-line block ×4, first 2 shown]
	buffer_store_dword v8, off, s[0:3], 0 offset:336
	buffer_store_dword v11, off, s[0:3], 0 offset:348
	buffer_store_dword v10, off, s[0:3], 0 offset:344
	buffer_store_dword v9, off, s[0:3], 0 offset:340
	buffer_load_dword v8, v20, s[36:39], 0 offen
	v_add_u32_e32 v9, s12, v13
	v_readlane_b32 s12, v111, 5
	v_cmp_gt_i32_e64 s[8:9], s33, v35
	s_waitcnt vmcnt(0)
	v_cndmask_b32_e64 v8, 0, v8, s[6:7]
	v_add_u16_e32 v10, v8, v14
	v_add_u16_sdwa v11, v8, v17 dst_sel:DWORD dst_unused:UNUSED_PAD src0_sel:BYTE_3 src1_sel:DWORD
	v_add_u16_sdwa v12, v8, v16 dst_sel:DWORD dst_unused:UNUSED_PAD src0_sel:WORD_1 src1_sel:DWORD
	v_add_u16_sdwa v8, v8, v15 dst_sel:DWORD dst_unused:UNUSED_PAD src0_sel:BYTE_1 src1_sel:DWORD
	v_max_i16_sdwa v10, sext(v10), v34 dst_sel:DWORD dst_unused:UNUSED_PAD src0_sel:BYTE_0 src1_sel:DWORD
	v_max_i16_sdwa v8, sext(v8), v34 dst_sel:DWORD dst_unused:UNUSED_PAD src0_sel:BYTE_0 src1_sel:DWORD
	;; [unrolled: 1-line block ×4, first 2 shown]
	buffer_store_dword v10, off, s[0:3], 0 offset:352
	buffer_store_dword v11, off, s[0:3], 0 offset:364
	;; [unrolled: 1-line block ×4, first 2 shown]
	buffer_load_dword v8, v9, s[36:39], 0 offen
	v_add_u32_e32 v10, 0x43, v35
	v_cmp_gt_i32_e64 s[6:7], s63, v10
	s_and_b64 s[4:5], s[6:7], s[4:5]
	v_add_u32_e32 v9, s10, v9
	s_and_b64 vcc, s[6:7], vcc
	s_waitcnt vmcnt(0)
	v_cndmask_b32_e64 v8, 0, v8, s[4:5]
	v_add_u16_e32 v0, v8, v0
	v_add_u16_sdwa v3, v8, v3 dst_sel:DWORD dst_unused:UNUSED_PAD src0_sel:BYTE_3 src1_sel:DWORD
	v_add_u16_sdwa v2, v8, v2 dst_sel:DWORD dst_unused:UNUSED_PAD src0_sel:WORD_1 src1_sel:DWORD
	v_add_u16_sdwa v1, v8, v1 dst_sel:DWORD dst_unused:UNUSED_PAD src0_sel:BYTE_1 src1_sel:DWORD
	v_max_i16_sdwa v0, sext(v0), v34 dst_sel:DWORD dst_unused:UNUSED_PAD src0_sel:BYTE_0 src1_sel:DWORD
	v_max_i16_sdwa v1, sext(v1), v34 dst_sel:DWORD dst_unused:UNUSED_PAD src0_sel:BYTE_0 src1_sel:DWORD
	v_max_i16_sdwa v2, sext(v2), v34 dst_sel:DWORD dst_unused:UNUSED_PAD src0_sel:BYTE_0 src1_sel:DWORD
	v_max_i16_sdwa v3, sext(v3), v34 dst_sel:DWORD dst_unused:UNUSED_PAD src0_sel:BYTE_0 src1_sel:DWORD
	buffer_store_dword v0, off, s[0:3], 0 offset:368
	buffer_store_dword v3, off, s[0:3], 0 offset:380
	;; [unrolled: 1-line block ×4, first 2 shown]
	buffer_load_dword v2, v9, s[36:39], 0 offen
	v_mul_lo_u32 v0, v35, s34
	v_cmp_gt_i32_e64 s[4:5], s12, v33
	v_mad_u64_u32 v[0:1], s[10:11], v33, s35, v[0:1]
	v_bfrev_b32_e32 v3, 1
	s_and_b64 s[10:11], s[8:9], s[4:5]
	v_lshlrev_b16_e32 v8, 8, v39
	v_lshlrev_b16_e32 v9, 8, v37
	v_cndmask_b32_e64 v1, v3, 0, s[10:11]
	v_or_b32_e32 v8, v40, v8
	v_or_b32_sdwa v9, v38, v9 dst_sel:WORD_1 dst_unused:UNUSED_PAD src0_sel:DWORD src1_sel:DWORD
	v_add_u32_e32 v1, v1, v0
	v_or_b32_sdwa v8, v8, v9 dst_sel:DWORD dst_unused:UNUSED_PAD src0_sel:WORD_0 src1_sel:DWORD
	s_lshl_b32 s11, s35, 6
	s_mov_b32 s10, 0xc0c0500
	s_waitcnt vmcnt(0)
	v_cndmask_b32_e32 v2, 0, v2, vcc
	v_add_u16_e32 v4, v2, v4
	v_add_u16_sdwa v7, v2, v7 dst_sel:DWORD dst_unused:UNUSED_PAD src0_sel:BYTE_3 src1_sel:DWORD
	v_add_u16_sdwa v6, v2, v6 dst_sel:DWORD dst_unused:UNUSED_PAD src0_sel:WORD_1 src1_sel:DWORD
	v_add_u16_sdwa v2, v2, v5 dst_sel:DWORD dst_unused:UNUSED_PAD src0_sel:BYTE_1 src1_sel:DWORD
	v_max_i16_sdwa v4, sext(v4), v34 dst_sel:DWORD dst_unused:UNUSED_PAD src0_sel:BYTE_0 src1_sel:DWORD
	v_max_i16_sdwa v2, sext(v2), v34 dst_sel:DWORD dst_unused:UNUSED_PAD src0_sel:BYTE_0 src1_sel:DWORD
	;; [unrolled: 1-line block ×4, first 2 shown]
	buffer_store_dword v4, off, s[0:3], 0 offset:384
	buffer_store_dword v6, off, s[0:3], 0 offset:396
	;; [unrolled: 1-line block ×4, first 2 shown]
	buffer_store_dword v8, v1, s[24:27], 0 offen
	buffer_load_dword v1, off, s[0:3], 0 offset:164
	s_nop 0
	buffer_load_dword v2, off, s[0:3], 0 offset:168
	buffer_load_dword v4, off, s[0:3], 0 offset:172
	;; [unrolled: 1-line block ×3, first 2 shown]
	v_cmp_gt_i32_e32 vcc, s12, v41
	s_and_b64 s[6:7], s[8:9], vcc
	v_add_u32_e32 v6, s11, v0
	v_cndmask_b32_e64 v7, v3, 0, s[6:7]
	v_add_u32_e32 v7, v7, v6
	v_cmp_gt_i32_e64 s[6:7], s33, v42
	s_and_b64 s[8:9], s[6:7], vcc
	v_add_u32_e32 v6, s34, v6
	s_and_b64 s[6:7], s[6:7], s[4:5]
	v_add_u32_e32 v0, s34, v0
	s_lshl_b32 s12, s34, 6
	s_waitcnt vmcnt(3)
	v_lshlrev_b32_e32 v1, 8, v1
	s_waitcnt vmcnt(2)
	v_lshlrev_b32_e32 v2, 16, v2
	;; [unrolled: 2-line block ×3, first 2 shown]
	v_and_b32_e32 v2, 0xff0000, v2
	s_waitcnt vmcnt(0)
	v_perm_b32 v1, v1, v5, s10
	v_or3_b32 v1, v1, v2, v4
	buffer_store_dword v1, v7, s[24:27], 0 offen
	buffer_load_dword v1, off, s[0:3], 0 offset:196
	s_nop 0
	buffer_load_dword v2, off, s[0:3], 0 offset:200
	buffer_load_dword v4, off, s[0:3], 0 offset:204
	;; [unrolled: 1-line block ×3, first 2 shown]
	v_cndmask_b32_e64 v7, v3, 0, s[8:9]
	v_add_u32_e32 v7, v7, v6
	v_add_u32_e32 v6, s34, v6
	s_waitcnt vmcnt(3)
	v_lshlrev_b32_e32 v1, 8, v1
	s_waitcnt vmcnt(2)
	v_lshlrev_b32_e32 v2, 16, v2
	s_waitcnt vmcnt(1)
	v_lshlrev_b32_e32 v4, 24, v4
	v_and_b32_e32 v2, 0xff0000, v2
	s_waitcnt vmcnt(0)
	v_perm_b32 v1, v1, v5, s10
	v_or3_b32 v1, v1, v2, v4
	buffer_store_dword v1, v7, s[24:27], 0 offen
	buffer_load_dword v1, off, s[0:3], 0 offset:180
	s_nop 0
	buffer_load_dword v2, off, s[0:3], 0 offset:184
	buffer_load_dword v4, off, s[0:3], 0 offset:188
	buffer_load_dword v5, off, s[0:3], 0 offset:176
	v_cndmask_b32_e64 v7, v3, 0, s[6:7]
	v_add_u32_e32 v7, v0, v7
	v_cmp_gt_i32_e64 s[6:7], s33, v43
	s_and_b64 s[8:9], s[6:7], s[4:5]
	s_and_b64 s[6:7], s[6:7], vcc
	s_waitcnt vmcnt(3)
	v_lshlrev_b32_e32 v1, 8, v1
	s_waitcnt vmcnt(2)
	v_lshlrev_b32_e32 v2, 16, v2
	;; [unrolled: 2-line block ×3, first 2 shown]
	v_and_b32_e32 v2, 0xff0000, v2
	s_waitcnt vmcnt(0)
	v_perm_b32 v1, v1, v5, s10
	v_or3_b32 v1, v1, v2, v4
	buffer_store_dword v1, v7, s[24:27], 0 offen
	buffer_load_dword v1, off, s[0:3], 0 offset:212
	s_nop 0
	buffer_load_dword v2, off, s[0:3], 0 offset:216
	buffer_load_dword v4, off, s[0:3], 0 offset:220
	;; [unrolled: 1-line block ×3, first 2 shown]
	v_cndmask_b32_e64 v7, v3, 0, s[8:9]
	v_add3_u32 v0, v7, s34, v0
	s_waitcnt vmcnt(3)
	v_lshlrev_b32_e32 v1, 8, v1
	s_waitcnt vmcnt(2)
	v_lshlrev_b32_e32 v2, 16, v2
	;; [unrolled: 2-line block ×3, first 2 shown]
	v_and_b32_e32 v2, 0xff0000, v2
	s_waitcnt vmcnt(0)
	v_perm_b32 v1, v1, v5, s10
	v_or3_b32 v1, v1, v2, v4
	buffer_store_dword v1, v0, s[24:27], 0 offen
	buffer_load_dword v0, off, s[0:3], 0 offset:228
	s_nop 0
	buffer_load_dword v1, off, s[0:3], 0 offset:232
	buffer_load_dword v2, off, s[0:3], 0 offset:236
	;; [unrolled: 1-line block ×3, first 2 shown]
	v_cndmask_b32_e64 v5, v3, 0, s[6:7]
	v_add_u32_e32 v5, v6, v5
	v_cmp_gt_i32_e64 s[6:7], s33, v44
	s_and_b64 s[8:9], s[6:7], vcc
	v_add_u32_e32 v6, s34, v6
	s_and_b64 s[6:7], s[6:7], s[4:5]
	s_waitcnt vmcnt(3)
	v_lshlrev_b32_e32 v0, 8, v0
	s_waitcnt vmcnt(2)
	v_lshlrev_b32_e32 v1, 16, v1
	s_waitcnt vmcnt(1)
	v_lshlrev_b32_e32 v2, 24, v2
	v_and_b32_e32 v1, 0xff0000, v1
	s_waitcnt vmcnt(0)
	v_perm_b32 v0, v0, v4, s10
	v_or3_b32 v0, v0, v1, v2
	buffer_store_dword v0, v5, s[24:27], 0 offen
	buffer_load_dword v0, off, s[0:3], 0 offset:260
	s_nop 0
	buffer_load_dword v1, off, s[0:3], 0 offset:264
	buffer_load_dword v2, off, s[0:3], 0 offset:268
	;; [unrolled: 1-line block ×3, first 2 shown]
	v_cndmask_b32_e64 v5, v3, 0, s[8:9]
	v_add_u32_e32 v5, v6, v5
	v_subrev_u32_e32 v6, s11, v6
	s_waitcnt vmcnt(3)
	v_lshlrev_b32_e32 v0, 8, v0
	s_waitcnt vmcnt(2)
	v_lshlrev_b32_e32 v1, 16, v1
	;; [unrolled: 2-line block ×3, first 2 shown]
	v_and_b32_e32 v1, 0xff0000, v1
	s_waitcnt vmcnt(0)
	v_perm_b32 v0, v0, v4, s10
	v_or3_b32 v0, v0, v1, v2
	buffer_store_dword v0, v5, s[24:27], 0 offen
	buffer_load_dword v0, off, s[0:3], 0 offset:244
	s_nop 0
	buffer_load_dword v1, off, s[0:3], 0 offset:248
	buffer_load_dword v2, off, s[0:3], 0 offset:252
	;; [unrolled: 1-line block ×3, first 2 shown]
	v_cndmask_b32_e64 v5, v3, 0, s[6:7]
	v_add_u32_e32 v5, v6, v5
	v_cmp_gt_i32_e64 s[6:7], s33, v10
	s_and_b64 s[8:9], s[6:7], s[4:5]
	s_and_b64 s[6:7], s[6:7], vcc
	s_waitcnt vmcnt(3)
	v_lshlrev_b32_e32 v0, 8, v0
	s_waitcnt vmcnt(2)
	v_lshlrev_b32_e32 v1, 16, v1
	;; [unrolled: 2-line block ×3, first 2 shown]
	v_and_b32_e32 v1, 0xff0000, v1
	s_waitcnt vmcnt(0)
	v_perm_b32 v0, v0, v4, s10
	v_or3_b32 v0, v0, v1, v2
	buffer_store_dword v0, v5, s[24:27], 0 offen
	buffer_load_dword v0, off, s[0:3], 0 offset:372
	s_nop 0
	buffer_load_dword v1, off, s[0:3], 0 offset:376
	buffer_load_dword v2, off, s[0:3], 0 offset:380
	;; [unrolled: 1-line block ×3, first 2 shown]
	v_cndmask_b32_e64 v5, v3, 0, s[8:9]
	v_add3_u32 v5, v5, s12, v6
	s_add_i32 s8, s35, s34
	v_lshl_add_u32 v6, s8, 6, v6
	s_waitcnt vmcnt(3)
	v_lshlrev_b32_e32 v0, 8, v0
	s_waitcnt vmcnt(2)
	v_lshlrev_b32_e32 v1, 16, v1
	;; [unrolled: 2-line block ×3, first 2 shown]
	v_and_b32_e32 v1, 0xff0000, v1
	s_waitcnt vmcnt(0)
	v_perm_b32 v0, v0, v4, s10
	v_or3_b32 v0, v0, v1, v2
	buffer_store_dword v0, v5, s[24:27], 0 offen
	buffer_load_dword v0, off, s[0:3], 0 offset:388
	s_nop 0
	buffer_load_dword v1, off, s[0:3], 0 offset:392
	buffer_load_dword v2, off, s[0:3], 0 offset:396
	;; [unrolled: 1-line block ×3, first 2 shown]
	v_cndmask_b32_e64 v5, v3, 0, s[6:7]
	v_add_u32_e32 v5, v6, v5
	v_cmp_ge_i32_e64 s[6:7], s33, v10
	s_and_b64 s[6:7], s[6:7], vcc
	v_subrev_u32_e32 v6, s34, v6
	s_waitcnt vmcnt(3)
	v_lshlrev_b32_e32 v0, 8, v0
	s_waitcnt vmcnt(2)
	v_lshlrev_b32_e32 v1, 16, v1
	;; [unrolled: 2-line block ×3, first 2 shown]
	v_and_b32_e32 v1, 0xff0000, v1
	s_waitcnt vmcnt(0)
	v_perm_b32 v0, v0, v4, s10
	v_or3_b32 v0, v0, v1, v2
	buffer_store_dword v0, v5, s[24:27], 0 offen
	buffer_load_dword v0, off, s[0:3], 0 offset:356
	s_nop 0
	buffer_load_dword v1, off, s[0:3], 0 offset:360
	buffer_load_dword v2, off, s[0:3], 0 offset:364
	;; [unrolled: 1-line block ×3, first 2 shown]
	v_cndmask_b32_e64 v5, v3, 0, s[6:7]
	v_add_u32_e32 v5, v6, v5
	v_cmp_gt_i32_e64 s[6:7], s33, v18
	s_and_b64 s[6:7], s[6:7], s[4:5]
	v_subrev_u32_e32 v6, s11, v6
	s_waitcnt vmcnt(3)
	v_lshlrev_b32_e32 v0, 8, v0
	s_waitcnt vmcnt(2)
	v_lshlrev_b32_e32 v1, 16, v1
	;; [unrolled: 2-line block ×3, first 2 shown]
	v_and_b32_e32 v1, 0xff0000, v1
	s_waitcnt vmcnt(0)
	v_perm_b32 v0, v0, v4, s10
	v_or3_b32 v0, v0, v1, v2
	buffer_store_dword v0, v5, s[24:27], 0 offen
	buffer_load_dword v0, off, s[0:3], 0 offset:340
	s_nop 0
	buffer_load_dword v1, off, s[0:3], 0 offset:344
	buffer_load_dword v2, off, s[0:3], 0 offset:348
	;; [unrolled: 1-line block ×3, first 2 shown]
	v_cndmask_b32_e64 v5, v3, 0, s[6:7]
	v_add_u32_e32 v5, v6, v5
	v_cmp_ge_i32_e64 s[6:7], s33, v18
	s_and_b64 s[6:7], s[6:7], s[4:5]
	v_subrev_u32_e32 v6, s34, v6
	s_waitcnt vmcnt(3)
	v_lshlrev_b32_e32 v0, 8, v0
	s_waitcnt vmcnt(2)
	v_lshlrev_b32_e32 v1, 16, v1
	s_waitcnt vmcnt(1)
	v_lshlrev_b32_e32 v2, 24, v2
	v_and_b32_e32 v1, 0xff0000, v1
	s_waitcnt vmcnt(0)
	v_perm_b32 v0, v0, v4, s10
	v_or3_b32 v0, v0, v1, v2
	buffer_store_dword v0, v5, s[24:27], 0 offen
	buffer_load_dword v0, off, s[0:3], 0 offset:308
	s_nop 0
	buffer_load_dword v1, off, s[0:3], 0 offset:312
	buffer_load_dword v2, off, s[0:3], 0 offset:316
	;; [unrolled: 1-line block ×3, first 2 shown]
	v_cndmask_b32_e64 v5, v3, 0, s[6:7]
	v_add_u32_e32 v5, v6, v5
	v_cmp_gt_i32_e64 s[6:7], s33, v24
	s_and_b64 s[6:7], s[6:7], vcc
	v_add_u32_e32 v6, s11, v6
	s_waitcnt vmcnt(3)
	v_lshlrev_b32_e32 v0, 8, v0
	s_waitcnt vmcnt(2)
	v_lshlrev_b32_e32 v1, 16, v1
	;; [unrolled: 2-line block ×3, first 2 shown]
	v_and_b32_e32 v1, 0xff0000, v1
	s_waitcnt vmcnt(0)
	v_perm_b32 v0, v0, v4, s10
	v_or3_b32 v0, v0, v1, v2
	buffer_store_dword v0, v5, s[24:27], 0 offen
	buffer_load_dword v0, off, s[0:3], 0 offset:324
	s_nop 0
	buffer_load_dword v1, off, s[0:3], 0 offset:328
	buffer_load_dword v2, off, s[0:3], 0 offset:332
	;; [unrolled: 1-line block ×3, first 2 shown]
	v_cndmask_b32_e64 v5, v3, 0, s[6:7]
	v_add_u32_e32 v5, v6, v5
	v_cmp_ge_i32_e64 s[6:7], s33, v24
	s_and_b64 s[6:7], s[6:7], vcc
	v_subrev_u32_e32 v6, s34, v6
	v_cmp_gt_i32_e32 vcc, s33, v19
	s_and_b64 s[4:5], vcc, s[4:5]
	s_waitcnt vmcnt(3)
	v_lshlrev_b32_e32 v0, 8, v0
	s_waitcnt vmcnt(2)
	v_lshlrev_b32_e32 v1, 16, v1
	;; [unrolled: 2-line block ×3, first 2 shown]
	v_and_b32_e32 v1, 0xff0000, v1
	s_waitcnt vmcnt(0)
	v_perm_b32 v0, v0, v4, s10
	v_or3_b32 v0, v0, v1, v2
	buffer_store_dword v0, v5, s[24:27], 0 offen
	buffer_load_dword v0, off, s[0:3], 0 offset:292
	s_nop 0
	buffer_load_dword v1, off, s[0:3], 0 offset:296
	buffer_load_dword v2, off, s[0:3], 0 offset:300
	buffer_load_dword v4, off, s[0:3], 0 offset:288
	v_cndmask_b32_e64 v5, v3, 0, s[6:7]
	v_add_u32_e32 v5, v6, v5
	v_cndmask_b32_e64 v3, v3, 0, s[4:5]
	v_subrev_u32_e32 v3, s11, v3
	s_waitcnt vmcnt(3)
	v_lshlrev_b32_e32 v0, 8, v0
	s_waitcnt vmcnt(2)
	v_lshlrev_b32_e32 v1, 16, v1
	;; [unrolled: 2-line block ×3, first 2 shown]
	v_and_b32_e32 v1, 0xff0000, v1
	s_waitcnt vmcnt(0)
	v_perm_b32 v0, v0, v4, s10
	v_or3_b32 v0, v0, v1, v2
	buffer_store_dword v0, v5, s[24:27], 0 offen
	buffer_load_dword v0, off, s[0:3], 0 offset:276
	s_nop 0
	buffer_load_dword v1, off, s[0:3], 0 offset:280
	buffer_load_dword v2, off, s[0:3], 0 offset:284
	;; [unrolled: 1-line block ×3, first 2 shown]
	s_waitcnt vmcnt(3)
	v_lshlrev_b32_e32 v0, 8, v0
	s_waitcnt vmcnt(2)
	v_lshlrev_b32_e32 v1, 16, v1
	;; [unrolled: 2-line block ×3, first 2 shown]
	v_and_b32_e32 v1, 0xff0000, v1
	s_waitcnt vmcnt(0)
	v_perm_b32 v0, v0, v4, s10
	v_or3_b32 v0, v0, v1, v2
	v_add_u32_e32 v1, v3, v6
	buffer_store_dword v0, v1, s[24:27], 0 offen
	s_endpgm
	.section	.rodata,"a",@progbits
	.p2align	6, 0x0
	.amdhsa_kernel _ZN2ck16tensor_operation6device12_GLOBAL__N_137kernel_grouped_conv_fwd_dl_multiple_dINS_32GridwiseGemmDlMultipleD_km_kn_mnILi256EaiNS_5TupleIJaEEEaNS0_12element_wise11PassThroughES8_NS7_7AddReluELNS_25InMemoryDataOperationEnumE0ENS_16TensorDescriptorINS5_IJNS_5EmbedINS5_IJiiiiEEESD_Lb0EEENS_11PassThroughIiEENS_3PadIiiiLb0EEESI_SG_SG_NSC_INS5_IJiiEEESJ_Lb0EEESK_SG_NS_23Merge_v2_magic_divisionINS5_IJiiiEEEEESN_NS_8RightPadIiiLb0EEESP_NS_7UnMergeISJ_Lb0EEESG_EEENS5_IJNS_8SequenceIJLi0EEEENST_IJLi1EEEENST_IJLi2EEEENST_IJLi3EEEENST_IJLi4EEEENST_IJLi5EEEENST_IJLi6EEEENST_IJLi7EEEENST_IJLi8EEEENST_IJLi9ELi11ELi13EEEENST_IJLi10ELi12ELi14EEEENST_IJLi15EEEENST_IJLi16EEEENST_IJLi18EEEENST_IJLi17EEEEEEENS5_IJNST_IJLi1ELi2ELi3ELi4EEEESZ_S10_S11_S12_NST_IJLi9EEEENST_IJLi10ELi11EEEENST_IJLi12ELi13EEEENST_IJLi14EEEES15_S16_S18_S17_NST_IJLi19ELi20EEEENST_IJLi21EEEEEEENST_IJLi19ELi21ELi20EEEElEENSB_INS5_IJSR_SP_SP_SR_SG_EEENS5_IJSU_SV_SW_SY_SX_EEENS5_IJNST_IJLi1ELi2EEEESX_SY_NST_IJLi5ELi6EEEES11_EEENST_IJLi5ELi7ELi6EEEElEENSB_INS5_IJSK_SP_SP_EEENS5_IJSU_SV_SW_EEENS5_IJS1M_SX_SY_EEENST_IJLi3ELi4EEEElEELi128ELi128ELi16ELi4ELi4ELi4ELi1ENST_IJLi8ELi2EEEES1W_NST_IJLi8ELi1ELi1ELi4EEEENST_IJLi2ELi1ELi128ELi1EEEENST_IJLi1ELi2ELi0ELi3EEEES1Z_NST_IJLi4ELi1ELi1ELi4EEEES1Z_NST_IJLi1ELi1ELi1ELi4EEEES1X_S1Y_S1Z_S1Z_S20_S1Z_S21_NST_IJLi0ELi1ELi2ELi3ELi4ELi5EEEELi5ELi4EEEaNS5_IJPKaEEEaS8_S8_S9_NSB_INS5_IJSE_SG_SI_SI_SG_SG_SK_SK_SG_SN_SN_SP_SP_SR_SG_SG_NSQ_INS5_IJiNS_17integral_constantIiLi128EEEEEELb0EEENSF_INS27_IiLi4EEEEEEEENS5_IJSU_SV_SW_SX_SY_SZ_S10_S11_S12_S13_S14_S15_S16_S17_S18_NST_IJLi19EEEES1G_NST_IJLi20EEEEEEENS5_IJS1A_SZ_S10_S11_S12_S1B_S1C_S1D_S1E_S15_S16_S18_S17_S1F_S1G_NST_IJLi22EEEENST_IJLi23ELi24EEEENST_IJLi25EEEEEEENST_IJLi22ELi23ELi24ELi25EEEElEENSB_INS5_IJSR_SP_SP_SR_SG_SG_S2A_S2C_EEENS5_IJSU_SV_SW_SY_SX_SZ_S11_S10_EEENS5_IJS1M_SX_SY_S1N_S11_S12_NST_IJLi9ELi10EEEENST_IJLi11EEEEEEENST_IJLi8ELi9ELi10ELi11EEEElEENS5_IJNSB_INS5_IJSK_SP_SP_NSQ_INS5_IJiNS27_IiLi2EEENS27_IiLi64EEEEEELb0EEES2X_EEENS5_IJSU_SV_SW_SX_SY_EEENS5_IJS1M_SX_SY_NST_IJLi5ELi6ELi7EEEENST_IJLi8ELi9ELi10EEEEEEENST_IJLi5ELi6ELi7ELi8ELi9ELi10EEEElEEEEES34_NS_31BlockToCTileMap_M00_N00_M01_N01ILi128ELi128ES1V_Lb0EEENS1_30ComputePtrOffsetOfStridedBatchILi1ELi1ELi1EvEELb1ELb0EEEvPKT0_S3C_T1_PT2_T3_T4_T5_iT6_T7_T8_T9_T10_T11_
		.amdhsa_group_segment_fixed_size 32768
		.amdhsa_private_segment_fixed_size 480
		.amdhsa_kernarg_size 968
		.amdhsa_user_sgpr_count 8
		.amdhsa_user_sgpr_private_segment_buffer 1
		.amdhsa_user_sgpr_dispatch_ptr 0
		.amdhsa_user_sgpr_queue_ptr 0
		.amdhsa_user_sgpr_kernarg_segment_ptr 1
		.amdhsa_user_sgpr_dispatch_id 0
		.amdhsa_user_sgpr_flat_scratch_init 1
		.amdhsa_user_sgpr_kernarg_preload_length 0
		.amdhsa_user_sgpr_kernarg_preload_offset 0
		.amdhsa_user_sgpr_private_segment_size 0
		.amdhsa_uses_dynamic_stack 0
		.amdhsa_system_sgpr_private_segment_wavefront_offset 1
		.amdhsa_system_sgpr_workgroup_id_x 1
		.amdhsa_system_sgpr_workgroup_id_y 0
		.amdhsa_system_sgpr_workgroup_id_z 0
		.amdhsa_system_sgpr_workgroup_info 0
		.amdhsa_system_vgpr_workitem_id 0
		.amdhsa_next_free_vgpr 112
		.amdhsa_next_free_sgpr 100
		.amdhsa_accum_offset 112
		.amdhsa_reserve_vcc 1
		.amdhsa_reserve_flat_scratch 1
		.amdhsa_float_round_mode_32 0
		.amdhsa_float_round_mode_16_64 0
		.amdhsa_float_denorm_mode_32 3
		.amdhsa_float_denorm_mode_16_64 3
		.amdhsa_dx10_clamp 1
		.amdhsa_ieee_mode 1
		.amdhsa_fp16_overflow 0
		.amdhsa_tg_split 0
		.amdhsa_exception_fp_ieee_invalid_op 0
		.amdhsa_exception_fp_denorm_src 0
		.amdhsa_exception_fp_ieee_div_zero 0
		.amdhsa_exception_fp_ieee_overflow 0
		.amdhsa_exception_fp_ieee_underflow 0
		.amdhsa_exception_fp_ieee_inexact 0
		.amdhsa_exception_int_div_zero 0
	.end_amdhsa_kernel
	.section	.text._ZN2ck16tensor_operation6device12_GLOBAL__N_137kernel_grouped_conv_fwd_dl_multiple_dINS_32GridwiseGemmDlMultipleD_km_kn_mnILi256EaiNS_5TupleIJaEEEaNS0_12element_wise11PassThroughES8_NS7_7AddReluELNS_25InMemoryDataOperationEnumE0ENS_16TensorDescriptorINS5_IJNS_5EmbedINS5_IJiiiiEEESD_Lb0EEENS_11PassThroughIiEENS_3PadIiiiLb0EEESI_SG_SG_NSC_INS5_IJiiEEESJ_Lb0EEESK_SG_NS_23Merge_v2_magic_divisionINS5_IJiiiEEEEESN_NS_8RightPadIiiLb0EEESP_NS_7UnMergeISJ_Lb0EEESG_EEENS5_IJNS_8SequenceIJLi0EEEENST_IJLi1EEEENST_IJLi2EEEENST_IJLi3EEEENST_IJLi4EEEENST_IJLi5EEEENST_IJLi6EEEENST_IJLi7EEEENST_IJLi8EEEENST_IJLi9ELi11ELi13EEEENST_IJLi10ELi12ELi14EEEENST_IJLi15EEEENST_IJLi16EEEENST_IJLi18EEEENST_IJLi17EEEEEEENS5_IJNST_IJLi1ELi2ELi3ELi4EEEESZ_S10_S11_S12_NST_IJLi9EEEENST_IJLi10ELi11EEEENST_IJLi12ELi13EEEENST_IJLi14EEEES15_S16_S18_S17_NST_IJLi19ELi20EEEENST_IJLi21EEEEEEENST_IJLi19ELi21ELi20EEEElEENSB_INS5_IJSR_SP_SP_SR_SG_EEENS5_IJSU_SV_SW_SY_SX_EEENS5_IJNST_IJLi1ELi2EEEESX_SY_NST_IJLi5ELi6EEEES11_EEENST_IJLi5ELi7ELi6EEEElEENSB_INS5_IJSK_SP_SP_EEENS5_IJSU_SV_SW_EEENS5_IJS1M_SX_SY_EEENST_IJLi3ELi4EEEElEELi128ELi128ELi16ELi4ELi4ELi4ELi1ENST_IJLi8ELi2EEEES1W_NST_IJLi8ELi1ELi1ELi4EEEENST_IJLi2ELi1ELi128ELi1EEEENST_IJLi1ELi2ELi0ELi3EEEES1Z_NST_IJLi4ELi1ELi1ELi4EEEES1Z_NST_IJLi1ELi1ELi1ELi4EEEES1X_S1Y_S1Z_S1Z_S20_S1Z_S21_NST_IJLi0ELi1ELi2ELi3ELi4ELi5EEEELi5ELi4EEEaNS5_IJPKaEEEaS8_S8_S9_NSB_INS5_IJSE_SG_SI_SI_SG_SG_SK_SK_SG_SN_SN_SP_SP_SR_SG_SG_NSQ_INS5_IJiNS_17integral_constantIiLi128EEEEEELb0EEENSF_INS27_IiLi4EEEEEEEENS5_IJSU_SV_SW_SX_SY_SZ_S10_S11_S12_S13_S14_S15_S16_S17_S18_NST_IJLi19EEEES1G_NST_IJLi20EEEEEEENS5_IJS1A_SZ_S10_S11_S12_S1B_S1C_S1D_S1E_S15_S16_S18_S17_S1F_S1G_NST_IJLi22EEEENST_IJLi23ELi24EEEENST_IJLi25EEEEEEENST_IJLi22ELi23ELi24ELi25EEEElEENSB_INS5_IJSR_SP_SP_SR_SG_SG_S2A_S2C_EEENS5_IJSU_SV_SW_SY_SX_SZ_S11_S10_EEENS5_IJS1M_SX_SY_S1N_S11_S12_NST_IJLi9ELi10EEEENST_IJLi11EEEEEEENST_IJLi8ELi9ELi10ELi11EEEElEENS5_IJNSB_INS5_IJSK_SP_SP_NSQ_INS5_IJiNS27_IiLi2EEENS27_IiLi64EEEEEELb0EEES2X_EEENS5_IJSU_SV_SW_SX_SY_EEENS5_IJS1M_SX_SY_NST_IJLi5ELi6ELi7EEEENST_IJLi8ELi9ELi10EEEEEEENST_IJLi5ELi6ELi7ELi8ELi9ELi10EEEElEEEEES34_NS_31BlockToCTileMap_M00_N00_M01_N01ILi128ELi128ES1V_Lb0EEENS1_30ComputePtrOffsetOfStridedBatchILi1ELi1ELi1EvEELb1ELb0EEEvPKT0_S3C_T1_PT2_T3_T4_T5_iT6_T7_T8_T9_T10_T11_,"axG",@progbits,_ZN2ck16tensor_operation6device12_GLOBAL__N_137kernel_grouped_conv_fwd_dl_multiple_dINS_32GridwiseGemmDlMultipleD_km_kn_mnILi256EaiNS_5TupleIJaEEEaNS0_12element_wise11PassThroughES8_NS7_7AddReluELNS_25InMemoryDataOperationEnumE0ENS_16TensorDescriptorINS5_IJNS_5EmbedINS5_IJiiiiEEESD_Lb0EEENS_11PassThroughIiEENS_3PadIiiiLb0EEESI_SG_SG_NSC_INS5_IJiiEEESJ_Lb0EEESK_SG_NS_23Merge_v2_magic_divisionINS5_IJiiiEEEEESN_NS_8RightPadIiiLb0EEESP_NS_7UnMergeISJ_Lb0EEESG_EEENS5_IJNS_8SequenceIJLi0EEEENST_IJLi1EEEENST_IJLi2EEEENST_IJLi3EEEENST_IJLi4EEEENST_IJLi5EEEENST_IJLi6EEEENST_IJLi7EEEENST_IJLi8EEEENST_IJLi9ELi11ELi13EEEENST_IJLi10ELi12ELi14EEEENST_IJLi15EEEENST_IJLi16EEEENST_IJLi18EEEENST_IJLi17EEEEEEENS5_IJNST_IJLi1ELi2ELi3ELi4EEEESZ_S10_S11_S12_NST_IJLi9EEEENST_IJLi10ELi11EEEENST_IJLi12ELi13EEEENST_IJLi14EEEES15_S16_S18_S17_NST_IJLi19ELi20EEEENST_IJLi21EEEEEEENST_IJLi19ELi21ELi20EEEElEENSB_INS5_IJSR_SP_SP_SR_SG_EEENS5_IJSU_SV_SW_SY_SX_EEENS5_IJNST_IJLi1ELi2EEEESX_SY_NST_IJLi5ELi6EEEES11_EEENST_IJLi5ELi7ELi6EEEElEENSB_INS5_IJSK_SP_SP_EEENS5_IJSU_SV_SW_EEENS5_IJS1M_SX_SY_EEENST_IJLi3ELi4EEEElEELi128ELi128ELi16ELi4ELi4ELi4ELi1ENST_IJLi8ELi2EEEES1W_NST_IJLi8ELi1ELi1ELi4EEEENST_IJLi2ELi1ELi128ELi1EEEENST_IJLi1ELi2ELi0ELi3EEEES1Z_NST_IJLi4ELi1ELi1ELi4EEEES1Z_NST_IJLi1ELi1ELi1ELi4EEEES1X_S1Y_S1Z_S1Z_S20_S1Z_S21_NST_IJLi0ELi1ELi2ELi3ELi4ELi5EEEELi5ELi4EEEaNS5_IJPKaEEEaS8_S8_S9_NSB_INS5_IJSE_SG_SI_SI_SG_SG_SK_SK_SG_SN_SN_SP_SP_SR_SG_SG_NSQ_INS5_IJiNS_17integral_constantIiLi128EEEEEELb0EEENSF_INS27_IiLi4EEEEEEEENS5_IJSU_SV_SW_SX_SY_SZ_S10_S11_S12_S13_S14_S15_S16_S17_S18_NST_IJLi19EEEES1G_NST_IJLi20EEEEEEENS5_IJS1A_SZ_S10_S11_S12_S1B_S1C_S1D_S1E_S15_S16_S18_S17_S1F_S1G_NST_IJLi22EEEENST_IJLi23ELi24EEEENST_IJLi25EEEEEEENST_IJLi22ELi23ELi24ELi25EEEElEENSB_INS5_IJSR_SP_SP_SR_SG_SG_S2A_S2C_EEENS5_IJSU_SV_SW_SY_SX_SZ_S11_S10_EEENS5_IJS1M_SX_SY_S1N_S11_S12_NST_IJLi9ELi10EEEENST_IJLi11EEEEEEENST_IJLi8ELi9ELi10ELi11EEEElEENS5_IJNSB_INS5_IJSK_SP_SP_NSQ_INS5_IJiNS27_IiLi2EEENS27_IiLi64EEEEEELb0EEES2X_EEENS5_IJSU_SV_SW_SX_SY_EEENS5_IJS1M_SX_SY_NST_IJLi5ELi6ELi7EEEENST_IJLi8ELi9ELi10EEEEEEENST_IJLi5ELi6ELi7ELi8ELi9ELi10EEEElEEEEES34_NS_31BlockToCTileMap_M00_N00_M01_N01ILi128ELi128ES1V_Lb0EEENS1_30ComputePtrOffsetOfStridedBatchILi1ELi1ELi1EvEELb1ELb0EEEvPKT0_S3C_T1_PT2_T3_T4_T5_iT6_T7_T8_T9_T10_T11_,comdat
.Lfunc_end7:
	.size	_ZN2ck16tensor_operation6device12_GLOBAL__N_137kernel_grouped_conv_fwd_dl_multiple_dINS_32GridwiseGemmDlMultipleD_km_kn_mnILi256EaiNS_5TupleIJaEEEaNS0_12element_wise11PassThroughES8_NS7_7AddReluELNS_25InMemoryDataOperationEnumE0ENS_16TensorDescriptorINS5_IJNS_5EmbedINS5_IJiiiiEEESD_Lb0EEENS_11PassThroughIiEENS_3PadIiiiLb0EEESI_SG_SG_NSC_INS5_IJiiEEESJ_Lb0EEESK_SG_NS_23Merge_v2_magic_divisionINS5_IJiiiEEEEESN_NS_8RightPadIiiLb0EEESP_NS_7UnMergeISJ_Lb0EEESG_EEENS5_IJNS_8SequenceIJLi0EEEENST_IJLi1EEEENST_IJLi2EEEENST_IJLi3EEEENST_IJLi4EEEENST_IJLi5EEEENST_IJLi6EEEENST_IJLi7EEEENST_IJLi8EEEENST_IJLi9ELi11ELi13EEEENST_IJLi10ELi12ELi14EEEENST_IJLi15EEEENST_IJLi16EEEENST_IJLi18EEEENST_IJLi17EEEEEEENS5_IJNST_IJLi1ELi2ELi3ELi4EEEESZ_S10_S11_S12_NST_IJLi9EEEENST_IJLi10ELi11EEEENST_IJLi12ELi13EEEENST_IJLi14EEEES15_S16_S18_S17_NST_IJLi19ELi20EEEENST_IJLi21EEEEEEENST_IJLi19ELi21ELi20EEEElEENSB_INS5_IJSR_SP_SP_SR_SG_EEENS5_IJSU_SV_SW_SY_SX_EEENS5_IJNST_IJLi1ELi2EEEESX_SY_NST_IJLi5ELi6EEEES11_EEENST_IJLi5ELi7ELi6EEEElEENSB_INS5_IJSK_SP_SP_EEENS5_IJSU_SV_SW_EEENS5_IJS1M_SX_SY_EEENST_IJLi3ELi4EEEElEELi128ELi128ELi16ELi4ELi4ELi4ELi1ENST_IJLi8ELi2EEEES1W_NST_IJLi8ELi1ELi1ELi4EEEENST_IJLi2ELi1ELi128ELi1EEEENST_IJLi1ELi2ELi0ELi3EEEES1Z_NST_IJLi4ELi1ELi1ELi4EEEES1Z_NST_IJLi1ELi1ELi1ELi4EEEES1X_S1Y_S1Z_S1Z_S20_S1Z_S21_NST_IJLi0ELi1ELi2ELi3ELi4ELi5EEEELi5ELi4EEEaNS5_IJPKaEEEaS8_S8_S9_NSB_INS5_IJSE_SG_SI_SI_SG_SG_SK_SK_SG_SN_SN_SP_SP_SR_SG_SG_NSQ_INS5_IJiNS_17integral_constantIiLi128EEEEEELb0EEENSF_INS27_IiLi4EEEEEEEENS5_IJSU_SV_SW_SX_SY_SZ_S10_S11_S12_S13_S14_S15_S16_S17_S18_NST_IJLi19EEEES1G_NST_IJLi20EEEEEEENS5_IJS1A_SZ_S10_S11_S12_S1B_S1C_S1D_S1E_S15_S16_S18_S17_S1F_S1G_NST_IJLi22EEEENST_IJLi23ELi24EEEENST_IJLi25EEEEEEENST_IJLi22ELi23ELi24ELi25EEEElEENSB_INS5_IJSR_SP_SP_SR_SG_SG_S2A_S2C_EEENS5_IJSU_SV_SW_SY_SX_SZ_S11_S10_EEENS5_IJS1M_SX_SY_S1N_S11_S12_NST_IJLi9ELi10EEEENST_IJLi11EEEEEEENST_IJLi8ELi9ELi10ELi11EEEElEENS5_IJNSB_INS5_IJSK_SP_SP_NSQ_INS5_IJiNS27_IiLi2EEENS27_IiLi64EEEEEELb0EEES2X_EEENS5_IJSU_SV_SW_SX_SY_EEENS5_IJS1M_SX_SY_NST_IJLi5ELi6ELi7EEEENST_IJLi8ELi9ELi10EEEEEEENST_IJLi5ELi6ELi7ELi8ELi9ELi10EEEElEEEEES34_NS_31BlockToCTileMap_M00_N00_M01_N01ILi128ELi128ES1V_Lb0EEENS1_30ComputePtrOffsetOfStridedBatchILi1ELi1ELi1EvEELb1ELb0EEEvPKT0_S3C_T1_PT2_T3_T4_T5_iT6_T7_T8_T9_T10_T11_, .Lfunc_end7-_ZN2ck16tensor_operation6device12_GLOBAL__N_137kernel_grouped_conv_fwd_dl_multiple_dINS_32GridwiseGemmDlMultipleD_km_kn_mnILi256EaiNS_5TupleIJaEEEaNS0_12element_wise11PassThroughES8_NS7_7AddReluELNS_25InMemoryDataOperationEnumE0ENS_16TensorDescriptorINS5_IJNS_5EmbedINS5_IJiiiiEEESD_Lb0EEENS_11PassThroughIiEENS_3PadIiiiLb0EEESI_SG_SG_NSC_INS5_IJiiEEESJ_Lb0EEESK_SG_NS_23Merge_v2_magic_divisionINS5_IJiiiEEEEESN_NS_8RightPadIiiLb0EEESP_NS_7UnMergeISJ_Lb0EEESG_EEENS5_IJNS_8SequenceIJLi0EEEENST_IJLi1EEEENST_IJLi2EEEENST_IJLi3EEEENST_IJLi4EEEENST_IJLi5EEEENST_IJLi6EEEENST_IJLi7EEEENST_IJLi8EEEENST_IJLi9ELi11ELi13EEEENST_IJLi10ELi12ELi14EEEENST_IJLi15EEEENST_IJLi16EEEENST_IJLi18EEEENST_IJLi17EEEEEEENS5_IJNST_IJLi1ELi2ELi3ELi4EEEESZ_S10_S11_S12_NST_IJLi9EEEENST_IJLi10ELi11EEEENST_IJLi12ELi13EEEENST_IJLi14EEEES15_S16_S18_S17_NST_IJLi19ELi20EEEENST_IJLi21EEEEEEENST_IJLi19ELi21ELi20EEEElEENSB_INS5_IJSR_SP_SP_SR_SG_EEENS5_IJSU_SV_SW_SY_SX_EEENS5_IJNST_IJLi1ELi2EEEESX_SY_NST_IJLi5ELi6EEEES11_EEENST_IJLi5ELi7ELi6EEEElEENSB_INS5_IJSK_SP_SP_EEENS5_IJSU_SV_SW_EEENS5_IJS1M_SX_SY_EEENST_IJLi3ELi4EEEElEELi128ELi128ELi16ELi4ELi4ELi4ELi1ENST_IJLi8ELi2EEEES1W_NST_IJLi8ELi1ELi1ELi4EEEENST_IJLi2ELi1ELi128ELi1EEEENST_IJLi1ELi2ELi0ELi3EEEES1Z_NST_IJLi4ELi1ELi1ELi4EEEES1Z_NST_IJLi1ELi1ELi1ELi4EEEES1X_S1Y_S1Z_S1Z_S20_S1Z_S21_NST_IJLi0ELi1ELi2ELi3ELi4ELi5EEEELi5ELi4EEEaNS5_IJPKaEEEaS8_S8_S9_NSB_INS5_IJSE_SG_SI_SI_SG_SG_SK_SK_SG_SN_SN_SP_SP_SR_SG_SG_NSQ_INS5_IJiNS_17integral_constantIiLi128EEEEEELb0EEENSF_INS27_IiLi4EEEEEEEENS5_IJSU_SV_SW_SX_SY_SZ_S10_S11_S12_S13_S14_S15_S16_S17_S18_NST_IJLi19EEEES1G_NST_IJLi20EEEEEEENS5_IJS1A_SZ_S10_S11_S12_S1B_S1C_S1D_S1E_S15_S16_S18_S17_S1F_S1G_NST_IJLi22EEEENST_IJLi23ELi24EEEENST_IJLi25EEEEEEENST_IJLi22ELi23ELi24ELi25EEEElEENSB_INS5_IJSR_SP_SP_SR_SG_SG_S2A_S2C_EEENS5_IJSU_SV_SW_SY_SX_SZ_S11_S10_EEENS5_IJS1M_SX_SY_S1N_S11_S12_NST_IJLi9ELi10EEEENST_IJLi11EEEEEEENST_IJLi8ELi9ELi10ELi11EEEElEENS5_IJNSB_INS5_IJSK_SP_SP_NSQ_INS5_IJiNS27_IiLi2EEENS27_IiLi64EEEEEELb0EEES2X_EEENS5_IJSU_SV_SW_SX_SY_EEENS5_IJS1M_SX_SY_NST_IJLi5ELi6ELi7EEEENST_IJLi8ELi9ELi10EEEEEEENST_IJLi5ELi6ELi7ELi8ELi9ELi10EEEElEEEEES34_NS_31BlockToCTileMap_M00_N00_M01_N01ILi128ELi128ES1V_Lb0EEENS1_30ComputePtrOffsetOfStridedBatchILi1ELi1ELi1EvEELb1ELb0EEEvPKT0_S3C_T1_PT2_T3_T4_T5_iT6_T7_T8_T9_T10_T11_
                                        ; -- End function
	.section	.AMDGPU.csdata,"",@progbits
; Kernel info:
; codeLenInByte = 14656
; NumSgprs: 106
; NumVgprs: 112
; NumAgprs: 0
; TotalNumVgprs: 112
; ScratchSize: 480
; MemoryBound: 0
; FloatMode: 240
; IeeeMode: 1
; LDSByteSize: 32768 bytes/workgroup (compile time only)
; SGPRBlocks: 13
; VGPRBlocks: 13
; NumSGPRsForWavesPerEU: 106
; NumVGPRsForWavesPerEU: 112
; AccumOffset: 112
; Occupancy: 2
; WaveLimiterHint : 1
; COMPUTE_PGM_RSRC2:SCRATCH_EN: 1
; COMPUTE_PGM_RSRC2:USER_SGPR: 8
; COMPUTE_PGM_RSRC2:TRAP_HANDLER: 0
; COMPUTE_PGM_RSRC2:TGID_X_EN: 1
; COMPUTE_PGM_RSRC2:TGID_Y_EN: 0
; COMPUTE_PGM_RSRC2:TGID_Z_EN: 0
; COMPUTE_PGM_RSRC2:TIDIG_COMP_CNT: 0
; COMPUTE_PGM_RSRC3_GFX90A:ACCUM_OFFSET: 27
; COMPUTE_PGM_RSRC3_GFX90A:TG_SPLIT: 0
	.section	.text._ZN2ck16tensor_operation6device12_GLOBAL__N_137kernel_grouped_conv_fwd_dl_multiple_dINS_32GridwiseGemmDlMultipleD_km_kn_mnILi256EaiNS_5TupleIJaEEEaNS0_12element_wise11PassThroughES8_NS7_7AddReluELNS_25InMemoryDataOperationEnumE0ENS_16TensorDescriptorINS5_IJNS_5EmbedINS5_IJiiiiEEESD_Lb0EEENS_11PassThroughIiEENS_3PadIiiiLb0EEESI_SG_SG_NSC_INS5_IJiiEEESJ_Lb0EEESK_SG_NS_23Merge_v2_magic_divisionINS5_IJiiiEEEEESN_NS_8RightPadIiiLb0EEESP_NS_7UnMergeISJ_Lb0EEESG_EEENS5_IJNS_8SequenceIJLi0EEEENST_IJLi1EEEENST_IJLi2EEEENST_IJLi3EEEENST_IJLi4EEEENST_IJLi5EEEENST_IJLi6EEEENST_IJLi7EEEENST_IJLi8EEEENST_IJLi9ELi11ELi13EEEENST_IJLi10ELi12ELi14EEEENST_IJLi15EEEENST_IJLi16EEEENST_IJLi18EEEENST_IJLi17EEEEEEENS5_IJNST_IJLi1ELi2ELi3ELi4EEEESZ_S10_S11_S12_NST_IJLi9EEEENST_IJLi10ELi11EEEENST_IJLi12ELi13EEEENST_IJLi14EEEES15_S16_S18_S17_NST_IJLi19ELi20EEEENST_IJLi21EEEEEEENST_IJLi19ELi21ELi20EEEElEENSB_INS5_IJSR_SP_SP_SR_SG_EEENS5_IJSU_SV_SW_SY_SX_EEENS5_IJNST_IJLi1ELi2EEEESX_SY_NST_IJLi5ELi6EEEES11_EEENST_IJLi5ELi7ELi6EEEElEENSB_INS5_IJSK_SP_SP_EEENS5_IJSU_SV_SW_EEENS5_IJS1M_SX_SY_EEENST_IJLi3ELi4EEEElEELi128ELi128ELi16ELi4ELi4ELi4ELi1ENST_IJLi8ELi2EEEES1W_NST_IJLi8ELi1ELi1ELi4EEEENST_IJLi2ELi1ELi128ELi1EEEENST_IJLi1ELi2ELi0ELi3EEEES1Z_NST_IJLi4ELi1ELi1ELi4EEEES1Z_NST_IJLi1ELi1ELi1ELi4EEEES1X_S1Y_S1Z_S1Z_S20_S1Z_S21_NST_IJLi0ELi1ELi2ELi3ELi4ELi5EEEELi5ELi4EEEaNS5_IJPKaEEEaS8_S8_S9_NSB_INS5_IJSE_SG_SI_SI_SG_SG_SK_SK_SG_SN_SN_SP_SP_SR_SG_SG_NSQ_INS5_IJiNS_17integral_constantIiLi128EEEEEELb0EEENSF_INS27_IiLi4EEEEEEEENS5_IJSU_SV_SW_SX_SY_SZ_S10_S11_S12_S13_S14_S15_S16_S17_S18_NST_IJLi19EEEES1G_NST_IJLi20EEEEEEENS5_IJS1A_SZ_S10_S11_S12_S1B_S1C_S1D_S1E_S15_S16_S18_S17_S1F_S1G_NST_IJLi22EEEENST_IJLi23ELi24EEEENST_IJLi25EEEEEEENST_IJLi22ELi23ELi24ELi25EEEElEENSB_INS5_IJSR_SP_SP_SR_SG_SG_S2A_S2C_EEENS5_IJSU_SV_SW_SY_SX_SZ_S11_S10_EEENS5_IJS1M_SX_SY_S1N_S11_S12_NST_IJLi9ELi10EEEENST_IJLi11EEEEEEENST_IJLi8ELi9ELi10ELi11EEEElEENS5_IJNSB_INS5_IJSK_SP_SP_NSQ_INS5_IJiNS27_IiLi2EEENS27_IiLi64EEEEEELb0EEES2X_EEENS5_IJSU_SV_SW_SX_SY_EEENS5_IJS1M_SX_SY_NST_IJLi5ELi6ELi7EEEENST_IJLi8ELi9ELi10EEEEEEENST_IJLi5ELi6ELi7ELi8ELi9ELi10EEEElEEEEES34_NS_31BlockToCTileMap_M00_N00_M01_N01ILi128ELi128ES1V_Lb0EEENS1_30ComputePtrOffsetOfStridedBatchILi1ELi1ELi1EvEELb0ELb1EEEvPKT0_S3C_T1_PT2_T3_T4_T5_iT6_T7_T8_T9_T10_T11_,"axG",@progbits,_ZN2ck16tensor_operation6device12_GLOBAL__N_137kernel_grouped_conv_fwd_dl_multiple_dINS_32GridwiseGemmDlMultipleD_km_kn_mnILi256EaiNS_5TupleIJaEEEaNS0_12element_wise11PassThroughES8_NS7_7AddReluELNS_25InMemoryDataOperationEnumE0ENS_16TensorDescriptorINS5_IJNS_5EmbedINS5_IJiiiiEEESD_Lb0EEENS_11PassThroughIiEENS_3PadIiiiLb0EEESI_SG_SG_NSC_INS5_IJiiEEESJ_Lb0EEESK_SG_NS_23Merge_v2_magic_divisionINS5_IJiiiEEEEESN_NS_8RightPadIiiLb0EEESP_NS_7UnMergeISJ_Lb0EEESG_EEENS5_IJNS_8SequenceIJLi0EEEENST_IJLi1EEEENST_IJLi2EEEENST_IJLi3EEEENST_IJLi4EEEENST_IJLi5EEEENST_IJLi6EEEENST_IJLi7EEEENST_IJLi8EEEENST_IJLi9ELi11ELi13EEEENST_IJLi10ELi12ELi14EEEENST_IJLi15EEEENST_IJLi16EEEENST_IJLi18EEEENST_IJLi17EEEEEEENS5_IJNST_IJLi1ELi2ELi3ELi4EEEESZ_S10_S11_S12_NST_IJLi9EEEENST_IJLi10ELi11EEEENST_IJLi12ELi13EEEENST_IJLi14EEEES15_S16_S18_S17_NST_IJLi19ELi20EEEENST_IJLi21EEEEEEENST_IJLi19ELi21ELi20EEEElEENSB_INS5_IJSR_SP_SP_SR_SG_EEENS5_IJSU_SV_SW_SY_SX_EEENS5_IJNST_IJLi1ELi2EEEESX_SY_NST_IJLi5ELi6EEEES11_EEENST_IJLi5ELi7ELi6EEEElEENSB_INS5_IJSK_SP_SP_EEENS5_IJSU_SV_SW_EEENS5_IJS1M_SX_SY_EEENST_IJLi3ELi4EEEElEELi128ELi128ELi16ELi4ELi4ELi4ELi1ENST_IJLi8ELi2EEEES1W_NST_IJLi8ELi1ELi1ELi4EEEENST_IJLi2ELi1ELi128ELi1EEEENST_IJLi1ELi2ELi0ELi3EEEES1Z_NST_IJLi4ELi1ELi1ELi4EEEES1Z_NST_IJLi1ELi1ELi1ELi4EEEES1X_S1Y_S1Z_S1Z_S20_S1Z_S21_NST_IJLi0ELi1ELi2ELi3ELi4ELi5EEEELi5ELi4EEEaNS5_IJPKaEEEaS8_S8_S9_NSB_INS5_IJSE_SG_SI_SI_SG_SG_SK_SK_SG_SN_SN_SP_SP_SR_SG_SG_NSQ_INS5_IJiNS_17integral_constantIiLi128EEEEEELb0EEENSF_INS27_IiLi4EEEEEEEENS5_IJSU_SV_SW_SX_SY_SZ_S10_S11_S12_S13_S14_S15_S16_S17_S18_NST_IJLi19EEEES1G_NST_IJLi20EEEEEEENS5_IJS1A_SZ_S10_S11_S12_S1B_S1C_S1D_S1E_S15_S16_S18_S17_S1F_S1G_NST_IJLi22EEEENST_IJLi23ELi24EEEENST_IJLi25EEEEEEENST_IJLi22ELi23ELi24ELi25EEEElEENSB_INS5_IJSR_SP_SP_SR_SG_SG_S2A_S2C_EEENS5_IJSU_SV_SW_SY_SX_SZ_S11_S10_EEENS5_IJS1M_SX_SY_S1N_S11_S12_NST_IJLi9ELi10EEEENST_IJLi11EEEEEEENST_IJLi8ELi9ELi10ELi11EEEElEENS5_IJNSB_INS5_IJSK_SP_SP_NSQ_INS5_IJiNS27_IiLi2EEENS27_IiLi64EEEEEELb0EEES2X_EEENS5_IJSU_SV_SW_SX_SY_EEENS5_IJS1M_SX_SY_NST_IJLi5ELi6ELi7EEEENST_IJLi8ELi9ELi10EEEEEEENST_IJLi5ELi6ELi7ELi8ELi9ELi10EEEElEEEEES34_NS_31BlockToCTileMap_M00_N00_M01_N01ILi128ELi128ES1V_Lb0EEENS1_30ComputePtrOffsetOfStridedBatchILi1ELi1ELi1EvEELb0ELb1EEEvPKT0_S3C_T1_PT2_T3_T4_T5_iT6_T7_T8_T9_T10_T11_,comdat
	.globl	_ZN2ck16tensor_operation6device12_GLOBAL__N_137kernel_grouped_conv_fwd_dl_multiple_dINS_32GridwiseGemmDlMultipleD_km_kn_mnILi256EaiNS_5TupleIJaEEEaNS0_12element_wise11PassThroughES8_NS7_7AddReluELNS_25InMemoryDataOperationEnumE0ENS_16TensorDescriptorINS5_IJNS_5EmbedINS5_IJiiiiEEESD_Lb0EEENS_11PassThroughIiEENS_3PadIiiiLb0EEESI_SG_SG_NSC_INS5_IJiiEEESJ_Lb0EEESK_SG_NS_23Merge_v2_magic_divisionINS5_IJiiiEEEEESN_NS_8RightPadIiiLb0EEESP_NS_7UnMergeISJ_Lb0EEESG_EEENS5_IJNS_8SequenceIJLi0EEEENST_IJLi1EEEENST_IJLi2EEEENST_IJLi3EEEENST_IJLi4EEEENST_IJLi5EEEENST_IJLi6EEEENST_IJLi7EEEENST_IJLi8EEEENST_IJLi9ELi11ELi13EEEENST_IJLi10ELi12ELi14EEEENST_IJLi15EEEENST_IJLi16EEEENST_IJLi18EEEENST_IJLi17EEEEEEENS5_IJNST_IJLi1ELi2ELi3ELi4EEEESZ_S10_S11_S12_NST_IJLi9EEEENST_IJLi10ELi11EEEENST_IJLi12ELi13EEEENST_IJLi14EEEES15_S16_S18_S17_NST_IJLi19ELi20EEEENST_IJLi21EEEEEEENST_IJLi19ELi21ELi20EEEElEENSB_INS5_IJSR_SP_SP_SR_SG_EEENS5_IJSU_SV_SW_SY_SX_EEENS5_IJNST_IJLi1ELi2EEEESX_SY_NST_IJLi5ELi6EEEES11_EEENST_IJLi5ELi7ELi6EEEElEENSB_INS5_IJSK_SP_SP_EEENS5_IJSU_SV_SW_EEENS5_IJS1M_SX_SY_EEENST_IJLi3ELi4EEEElEELi128ELi128ELi16ELi4ELi4ELi4ELi1ENST_IJLi8ELi2EEEES1W_NST_IJLi8ELi1ELi1ELi4EEEENST_IJLi2ELi1ELi128ELi1EEEENST_IJLi1ELi2ELi0ELi3EEEES1Z_NST_IJLi4ELi1ELi1ELi4EEEES1Z_NST_IJLi1ELi1ELi1ELi4EEEES1X_S1Y_S1Z_S1Z_S20_S1Z_S21_NST_IJLi0ELi1ELi2ELi3ELi4ELi5EEEELi5ELi4EEEaNS5_IJPKaEEEaS8_S8_S9_NSB_INS5_IJSE_SG_SI_SI_SG_SG_SK_SK_SG_SN_SN_SP_SP_SR_SG_SG_NSQ_INS5_IJiNS_17integral_constantIiLi128EEEEEELb0EEENSF_INS27_IiLi4EEEEEEEENS5_IJSU_SV_SW_SX_SY_SZ_S10_S11_S12_S13_S14_S15_S16_S17_S18_NST_IJLi19EEEES1G_NST_IJLi20EEEEEEENS5_IJS1A_SZ_S10_S11_S12_S1B_S1C_S1D_S1E_S15_S16_S18_S17_S1F_S1G_NST_IJLi22EEEENST_IJLi23ELi24EEEENST_IJLi25EEEEEEENST_IJLi22ELi23ELi24ELi25EEEElEENSB_INS5_IJSR_SP_SP_SR_SG_SG_S2A_S2C_EEENS5_IJSU_SV_SW_SY_SX_SZ_S11_S10_EEENS5_IJS1M_SX_SY_S1N_S11_S12_NST_IJLi9ELi10EEEENST_IJLi11EEEEEEENST_IJLi8ELi9ELi10ELi11EEEElEENS5_IJNSB_INS5_IJSK_SP_SP_NSQ_INS5_IJiNS27_IiLi2EEENS27_IiLi64EEEEEELb0EEES2X_EEENS5_IJSU_SV_SW_SX_SY_EEENS5_IJS1M_SX_SY_NST_IJLi5ELi6ELi7EEEENST_IJLi8ELi9ELi10EEEEEEENST_IJLi5ELi6ELi7ELi8ELi9ELi10EEEElEEEEES34_NS_31BlockToCTileMap_M00_N00_M01_N01ILi128ELi128ES1V_Lb0EEENS1_30ComputePtrOffsetOfStridedBatchILi1ELi1ELi1EvEELb0ELb1EEEvPKT0_S3C_T1_PT2_T3_T4_T5_iT6_T7_T8_T9_T10_T11_ ; -- Begin function _ZN2ck16tensor_operation6device12_GLOBAL__N_137kernel_grouped_conv_fwd_dl_multiple_dINS_32GridwiseGemmDlMultipleD_km_kn_mnILi256EaiNS_5TupleIJaEEEaNS0_12element_wise11PassThroughES8_NS7_7AddReluELNS_25InMemoryDataOperationEnumE0ENS_16TensorDescriptorINS5_IJNS_5EmbedINS5_IJiiiiEEESD_Lb0EEENS_11PassThroughIiEENS_3PadIiiiLb0EEESI_SG_SG_NSC_INS5_IJiiEEESJ_Lb0EEESK_SG_NS_23Merge_v2_magic_divisionINS5_IJiiiEEEEESN_NS_8RightPadIiiLb0EEESP_NS_7UnMergeISJ_Lb0EEESG_EEENS5_IJNS_8SequenceIJLi0EEEENST_IJLi1EEEENST_IJLi2EEEENST_IJLi3EEEENST_IJLi4EEEENST_IJLi5EEEENST_IJLi6EEEENST_IJLi7EEEENST_IJLi8EEEENST_IJLi9ELi11ELi13EEEENST_IJLi10ELi12ELi14EEEENST_IJLi15EEEENST_IJLi16EEEENST_IJLi18EEEENST_IJLi17EEEEEEENS5_IJNST_IJLi1ELi2ELi3ELi4EEEESZ_S10_S11_S12_NST_IJLi9EEEENST_IJLi10ELi11EEEENST_IJLi12ELi13EEEENST_IJLi14EEEES15_S16_S18_S17_NST_IJLi19ELi20EEEENST_IJLi21EEEEEEENST_IJLi19ELi21ELi20EEEElEENSB_INS5_IJSR_SP_SP_SR_SG_EEENS5_IJSU_SV_SW_SY_SX_EEENS5_IJNST_IJLi1ELi2EEEESX_SY_NST_IJLi5ELi6EEEES11_EEENST_IJLi5ELi7ELi6EEEElEENSB_INS5_IJSK_SP_SP_EEENS5_IJSU_SV_SW_EEENS5_IJS1M_SX_SY_EEENST_IJLi3ELi4EEEElEELi128ELi128ELi16ELi4ELi4ELi4ELi1ENST_IJLi8ELi2EEEES1W_NST_IJLi8ELi1ELi1ELi4EEEENST_IJLi2ELi1ELi128ELi1EEEENST_IJLi1ELi2ELi0ELi3EEEES1Z_NST_IJLi4ELi1ELi1ELi4EEEES1Z_NST_IJLi1ELi1ELi1ELi4EEEES1X_S1Y_S1Z_S1Z_S20_S1Z_S21_NST_IJLi0ELi1ELi2ELi3ELi4ELi5EEEELi5ELi4EEEaNS5_IJPKaEEEaS8_S8_S9_NSB_INS5_IJSE_SG_SI_SI_SG_SG_SK_SK_SG_SN_SN_SP_SP_SR_SG_SG_NSQ_INS5_IJiNS_17integral_constantIiLi128EEEEEELb0EEENSF_INS27_IiLi4EEEEEEEENS5_IJSU_SV_SW_SX_SY_SZ_S10_S11_S12_S13_S14_S15_S16_S17_S18_NST_IJLi19EEEES1G_NST_IJLi20EEEEEEENS5_IJS1A_SZ_S10_S11_S12_S1B_S1C_S1D_S1E_S15_S16_S18_S17_S1F_S1G_NST_IJLi22EEEENST_IJLi23ELi24EEEENST_IJLi25EEEEEEENST_IJLi22ELi23ELi24ELi25EEEElEENSB_INS5_IJSR_SP_SP_SR_SG_SG_S2A_S2C_EEENS5_IJSU_SV_SW_SY_SX_SZ_S11_S10_EEENS5_IJS1M_SX_SY_S1N_S11_S12_NST_IJLi9ELi10EEEENST_IJLi11EEEEEEENST_IJLi8ELi9ELi10ELi11EEEElEENS5_IJNSB_INS5_IJSK_SP_SP_NSQ_INS5_IJiNS27_IiLi2EEENS27_IiLi64EEEEEELb0EEES2X_EEENS5_IJSU_SV_SW_SX_SY_EEENS5_IJS1M_SX_SY_NST_IJLi5ELi6ELi7EEEENST_IJLi8ELi9ELi10EEEEEEENST_IJLi5ELi6ELi7ELi8ELi9ELi10EEEElEEEEES34_NS_31BlockToCTileMap_M00_N00_M01_N01ILi128ELi128ES1V_Lb0EEENS1_30ComputePtrOffsetOfStridedBatchILi1ELi1ELi1EvEELb0ELb1EEEvPKT0_S3C_T1_PT2_T3_T4_T5_iT6_T7_T8_T9_T10_T11_
	.p2align	8
	.type	_ZN2ck16tensor_operation6device12_GLOBAL__N_137kernel_grouped_conv_fwd_dl_multiple_dINS_32GridwiseGemmDlMultipleD_km_kn_mnILi256EaiNS_5TupleIJaEEEaNS0_12element_wise11PassThroughES8_NS7_7AddReluELNS_25InMemoryDataOperationEnumE0ENS_16TensorDescriptorINS5_IJNS_5EmbedINS5_IJiiiiEEESD_Lb0EEENS_11PassThroughIiEENS_3PadIiiiLb0EEESI_SG_SG_NSC_INS5_IJiiEEESJ_Lb0EEESK_SG_NS_23Merge_v2_magic_divisionINS5_IJiiiEEEEESN_NS_8RightPadIiiLb0EEESP_NS_7UnMergeISJ_Lb0EEESG_EEENS5_IJNS_8SequenceIJLi0EEEENST_IJLi1EEEENST_IJLi2EEEENST_IJLi3EEEENST_IJLi4EEEENST_IJLi5EEEENST_IJLi6EEEENST_IJLi7EEEENST_IJLi8EEEENST_IJLi9ELi11ELi13EEEENST_IJLi10ELi12ELi14EEEENST_IJLi15EEEENST_IJLi16EEEENST_IJLi18EEEENST_IJLi17EEEEEEENS5_IJNST_IJLi1ELi2ELi3ELi4EEEESZ_S10_S11_S12_NST_IJLi9EEEENST_IJLi10ELi11EEEENST_IJLi12ELi13EEEENST_IJLi14EEEES15_S16_S18_S17_NST_IJLi19ELi20EEEENST_IJLi21EEEEEEENST_IJLi19ELi21ELi20EEEElEENSB_INS5_IJSR_SP_SP_SR_SG_EEENS5_IJSU_SV_SW_SY_SX_EEENS5_IJNST_IJLi1ELi2EEEESX_SY_NST_IJLi5ELi6EEEES11_EEENST_IJLi5ELi7ELi6EEEElEENSB_INS5_IJSK_SP_SP_EEENS5_IJSU_SV_SW_EEENS5_IJS1M_SX_SY_EEENST_IJLi3ELi4EEEElEELi128ELi128ELi16ELi4ELi4ELi4ELi1ENST_IJLi8ELi2EEEES1W_NST_IJLi8ELi1ELi1ELi4EEEENST_IJLi2ELi1ELi128ELi1EEEENST_IJLi1ELi2ELi0ELi3EEEES1Z_NST_IJLi4ELi1ELi1ELi4EEEES1Z_NST_IJLi1ELi1ELi1ELi4EEEES1X_S1Y_S1Z_S1Z_S20_S1Z_S21_NST_IJLi0ELi1ELi2ELi3ELi4ELi5EEEELi5ELi4EEEaNS5_IJPKaEEEaS8_S8_S9_NSB_INS5_IJSE_SG_SI_SI_SG_SG_SK_SK_SG_SN_SN_SP_SP_SR_SG_SG_NSQ_INS5_IJiNS_17integral_constantIiLi128EEEEEELb0EEENSF_INS27_IiLi4EEEEEEEENS5_IJSU_SV_SW_SX_SY_SZ_S10_S11_S12_S13_S14_S15_S16_S17_S18_NST_IJLi19EEEES1G_NST_IJLi20EEEEEEENS5_IJS1A_SZ_S10_S11_S12_S1B_S1C_S1D_S1E_S15_S16_S18_S17_S1F_S1G_NST_IJLi22EEEENST_IJLi23ELi24EEEENST_IJLi25EEEEEEENST_IJLi22ELi23ELi24ELi25EEEElEENSB_INS5_IJSR_SP_SP_SR_SG_SG_S2A_S2C_EEENS5_IJSU_SV_SW_SY_SX_SZ_S11_S10_EEENS5_IJS1M_SX_SY_S1N_S11_S12_NST_IJLi9ELi10EEEENST_IJLi11EEEEEEENST_IJLi8ELi9ELi10ELi11EEEElEENS5_IJNSB_INS5_IJSK_SP_SP_NSQ_INS5_IJiNS27_IiLi2EEENS27_IiLi64EEEEEELb0EEES2X_EEENS5_IJSU_SV_SW_SX_SY_EEENS5_IJS1M_SX_SY_NST_IJLi5ELi6ELi7EEEENST_IJLi8ELi9ELi10EEEEEEENST_IJLi5ELi6ELi7ELi8ELi9ELi10EEEElEEEEES34_NS_31BlockToCTileMap_M00_N00_M01_N01ILi128ELi128ES1V_Lb0EEENS1_30ComputePtrOffsetOfStridedBatchILi1ELi1ELi1EvEELb0ELb1EEEvPKT0_S3C_T1_PT2_T3_T4_T5_iT6_T7_T8_T9_T10_T11_,@function
_ZN2ck16tensor_operation6device12_GLOBAL__N_137kernel_grouped_conv_fwd_dl_multiple_dINS_32GridwiseGemmDlMultipleD_km_kn_mnILi256EaiNS_5TupleIJaEEEaNS0_12element_wise11PassThroughES8_NS7_7AddReluELNS_25InMemoryDataOperationEnumE0ENS_16TensorDescriptorINS5_IJNS_5EmbedINS5_IJiiiiEEESD_Lb0EEENS_11PassThroughIiEENS_3PadIiiiLb0EEESI_SG_SG_NSC_INS5_IJiiEEESJ_Lb0EEESK_SG_NS_23Merge_v2_magic_divisionINS5_IJiiiEEEEESN_NS_8RightPadIiiLb0EEESP_NS_7UnMergeISJ_Lb0EEESG_EEENS5_IJNS_8SequenceIJLi0EEEENST_IJLi1EEEENST_IJLi2EEEENST_IJLi3EEEENST_IJLi4EEEENST_IJLi5EEEENST_IJLi6EEEENST_IJLi7EEEENST_IJLi8EEEENST_IJLi9ELi11ELi13EEEENST_IJLi10ELi12ELi14EEEENST_IJLi15EEEENST_IJLi16EEEENST_IJLi18EEEENST_IJLi17EEEEEEENS5_IJNST_IJLi1ELi2ELi3ELi4EEEESZ_S10_S11_S12_NST_IJLi9EEEENST_IJLi10ELi11EEEENST_IJLi12ELi13EEEENST_IJLi14EEEES15_S16_S18_S17_NST_IJLi19ELi20EEEENST_IJLi21EEEEEEENST_IJLi19ELi21ELi20EEEElEENSB_INS5_IJSR_SP_SP_SR_SG_EEENS5_IJSU_SV_SW_SY_SX_EEENS5_IJNST_IJLi1ELi2EEEESX_SY_NST_IJLi5ELi6EEEES11_EEENST_IJLi5ELi7ELi6EEEElEENSB_INS5_IJSK_SP_SP_EEENS5_IJSU_SV_SW_EEENS5_IJS1M_SX_SY_EEENST_IJLi3ELi4EEEElEELi128ELi128ELi16ELi4ELi4ELi4ELi1ENST_IJLi8ELi2EEEES1W_NST_IJLi8ELi1ELi1ELi4EEEENST_IJLi2ELi1ELi128ELi1EEEENST_IJLi1ELi2ELi0ELi3EEEES1Z_NST_IJLi4ELi1ELi1ELi4EEEES1Z_NST_IJLi1ELi1ELi1ELi4EEEES1X_S1Y_S1Z_S1Z_S20_S1Z_S21_NST_IJLi0ELi1ELi2ELi3ELi4ELi5EEEELi5ELi4EEEaNS5_IJPKaEEEaS8_S8_S9_NSB_INS5_IJSE_SG_SI_SI_SG_SG_SK_SK_SG_SN_SN_SP_SP_SR_SG_SG_NSQ_INS5_IJiNS_17integral_constantIiLi128EEEEEELb0EEENSF_INS27_IiLi4EEEEEEEENS5_IJSU_SV_SW_SX_SY_SZ_S10_S11_S12_S13_S14_S15_S16_S17_S18_NST_IJLi19EEEES1G_NST_IJLi20EEEEEEENS5_IJS1A_SZ_S10_S11_S12_S1B_S1C_S1D_S1E_S15_S16_S18_S17_S1F_S1G_NST_IJLi22EEEENST_IJLi23ELi24EEEENST_IJLi25EEEEEEENST_IJLi22ELi23ELi24ELi25EEEElEENSB_INS5_IJSR_SP_SP_SR_SG_SG_S2A_S2C_EEENS5_IJSU_SV_SW_SY_SX_SZ_S11_S10_EEENS5_IJS1M_SX_SY_S1N_S11_S12_NST_IJLi9ELi10EEEENST_IJLi11EEEEEEENST_IJLi8ELi9ELi10ELi11EEEElEENS5_IJNSB_INS5_IJSK_SP_SP_NSQ_INS5_IJiNS27_IiLi2EEENS27_IiLi64EEEEEELb0EEES2X_EEENS5_IJSU_SV_SW_SX_SY_EEENS5_IJS1M_SX_SY_NST_IJLi5ELi6ELi7EEEENST_IJLi8ELi9ELi10EEEEEEENST_IJLi5ELi6ELi7ELi8ELi9ELi10EEEElEEEEES34_NS_31BlockToCTileMap_M00_N00_M01_N01ILi128ELi128ES1V_Lb0EEENS1_30ComputePtrOffsetOfStridedBatchILi1ELi1ELi1EvEELb0ELb1EEEvPKT0_S3C_T1_PT2_T3_T4_T5_iT6_T7_T8_T9_T10_T11_: ; @_ZN2ck16tensor_operation6device12_GLOBAL__N_137kernel_grouped_conv_fwd_dl_multiple_dINS_32GridwiseGemmDlMultipleD_km_kn_mnILi256EaiNS_5TupleIJaEEEaNS0_12element_wise11PassThroughES8_NS7_7AddReluELNS_25InMemoryDataOperationEnumE0ENS_16TensorDescriptorINS5_IJNS_5EmbedINS5_IJiiiiEEESD_Lb0EEENS_11PassThroughIiEENS_3PadIiiiLb0EEESI_SG_SG_NSC_INS5_IJiiEEESJ_Lb0EEESK_SG_NS_23Merge_v2_magic_divisionINS5_IJiiiEEEEESN_NS_8RightPadIiiLb0EEESP_NS_7UnMergeISJ_Lb0EEESG_EEENS5_IJNS_8SequenceIJLi0EEEENST_IJLi1EEEENST_IJLi2EEEENST_IJLi3EEEENST_IJLi4EEEENST_IJLi5EEEENST_IJLi6EEEENST_IJLi7EEEENST_IJLi8EEEENST_IJLi9ELi11ELi13EEEENST_IJLi10ELi12ELi14EEEENST_IJLi15EEEENST_IJLi16EEEENST_IJLi18EEEENST_IJLi17EEEEEEENS5_IJNST_IJLi1ELi2ELi3ELi4EEEESZ_S10_S11_S12_NST_IJLi9EEEENST_IJLi10ELi11EEEENST_IJLi12ELi13EEEENST_IJLi14EEEES15_S16_S18_S17_NST_IJLi19ELi20EEEENST_IJLi21EEEEEEENST_IJLi19ELi21ELi20EEEElEENSB_INS5_IJSR_SP_SP_SR_SG_EEENS5_IJSU_SV_SW_SY_SX_EEENS5_IJNST_IJLi1ELi2EEEESX_SY_NST_IJLi5ELi6EEEES11_EEENST_IJLi5ELi7ELi6EEEElEENSB_INS5_IJSK_SP_SP_EEENS5_IJSU_SV_SW_EEENS5_IJS1M_SX_SY_EEENST_IJLi3ELi4EEEElEELi128ELi128ELi16ELi4ELi4ELi4ELi1ENST_IJLi8ELi2EEEES1W_NST_IJLi8ELi1ELi1ELi4EEEENST_IJLi2ELi1ELi128ELi1EEEENST_IJLi1ELi2ELi0ELi3EEEES1Z_NST_IJLi4ELi1ELi1ELi4EEEES1Z_NST_IJLi1ELi1ELi1ELi4EEEES1X_S1Y_S1Z_S1Z_S20_S1Z_S21_NST_IJLi0ELi1ELi2ELi3ELi4ELi5EEEELi5ELi4EEEaNS5_IJPKaEEEaS8_S8_S9_NSB_INS5_IJSE_SG_SI_SI_SG_SG_SK_SK_SG_SN_SN_SP_SP_SR_SG_SG_NSQ_INS5_IJiNS_17integral_constantIiLi128EEEEEELb0EEENSF_INS27_IiLi4EEEEEEEENS5_IJSU_SV_SW_SX_SY_SZ_S10_S11_S12_S13_S14_S15_S16_S17_S18_NST_IJLi19EEEES1G_NST_IJLi20EEEEEEENS5_IJS1A_SZ_S10_S11_S12_S1B_S1C_S1D_S1E_S15_S16_S18_S17_S1F_S1G_NST_IJLi22EEEENST_IJLi23ELi24EEEENST_IJLi25EEEEEEENST_IJLi22ELi23ELi24ELi25EEEElEENSB_INS5_IJSR_SP_SP_SR_SG_SG_S2A_S2C_EEENS5_IJSU_SV_SW_SY_SX_SZ_S11_S10_EEENS5_IJS1M_SX_SY_S1N_S11_S12_NST_IJLi9ELi10EEEENST_IJLi11EEEEEEENST_IJLi8ELi9ELi10ELi11EEEElEENS5_IJNSB_INS5_IJSK_SP_SP_NSQ_INS5_IJiNS27_IiLi2EEENS27_IiLi64EEEEEELb0EEES2X_EEENS5_IJSU_SV_SW_SX_SY_EEENS5_IJS1M_SX_SY_NST_IJLi5ELi6ELi7EEEENST_IJLi8ELi9ELi10EEEEEEENST_IJLi5ELi6ELi7ELi8ELi9ELi10EEEElEEEEES34_NS_31BlockToCTileMap_M00_N00_M01_N01ILi128ELi128ES1V_Lb0EEENS1_30ComputePtrOffsetOfStridedBatchILi1ELi1ELi1EvEELb0ELb1EEEvPKT0_S3C_T1_PT2_T3_T4_T5_iT6_T7_T8_T9_T10_T11_
; %bb.0:
	s_add_u32 flat_scratch_lo, s6, s9
	s_addc_u32 flat_scratch_hi, s7, 0
	s_add_u32 s0, s0, s9
	s_addc_u32 s1, s1, 0
	s_load_dwordx8 s[12:19], s[4:5], 0x0
	s_load_dword s20, s[4:5], 0x24
	s_load_dwordx4 s[44:47], s[4:5], 0x38
	s_load_dwordx4 s[28:31], s[4:5], 0x4c
	s_load_dwordx2 s[64:65], s[4:5], 0x5c
	s_load_dwordx2 s[66:67], s[4:5], 0x74
	;; [unrolled: 1-line block ×9, first 2 shown]
	s_load_dword s80, s[4:5], 0x100
	s_load_dword s38, s[4:5], 0x128
	;; [unrolled: 1-line block ×7, first 2 shown]
	s_waitcnt lgkmcnt(0)
	s_abs_i32 s22, s20
	v_cvt_f32_u32_e32 v1, s22
	s_sub_i32 s23, 0, s22
	s_load_dword s50, s[4:5], 0x188
	s_load_dwordx2 s[34:35], s[4:5], 0x198
	s_load_dword s33, s[4:5], 0x1a4
	s_load_dword s78, s[4:5], 0x1b0
	;; [unrolled: 1-line block ×3, first 2 shown]
	s_xor_b32 s20, s21, s20
	v_rcp_iflag_f32_e32 v1, v1
	s_abs_i32 s21, s21
	s_ashr_i32 s20, s20, 31
	s_load_dword s39, s[4:5], 0x244
	s_load_dword s51, s[4:5], 0x254
	v_mul_f32_e32 v1, 0x4f7ffffe, v1
	v_cvt_u32_f32_e32 v1, v1
	s_load_dwordx4 s[52:55], s[4:5], 0x260
	s_load_dwordx4 s[60:63], s[4:5], 0x274
	;; [unrolled: 1-line block ×3, first 2 shown]
	v_lshrrev_b32_e32 v21, 1, v0
	v_mov_b32_e32 v34, 0
	v_readfirstlane_b32 s24, v1
	s_mul_i32 s23, s23, s24
	s_mul_hi_u32 s23, s24, s23
	s_add_i32 s24, s24, s23
	s_mul_hi_u32 s23, s21, s24
	s_mul_i32 s24, s23, s22
	s_sub_i32 s21, s21, s24
	s_add_i32 s24, s23, 1
	s_sub_i32 s25, s21, s22
	s_cmp_ge_u32 s21, s22
	s_cselect_b32 s23, s24, s23
	s_cselect_b32 s21, s25, s21
	s_add_i32 s24, s23, 1
	s_cmp_ge_u32 s21, s22
	s_cselect_b32 s21, s24, s23
	s_xor_b32 s21, s21, s20
	s_sub_i32 s36, s21, s20
	s_abs_i32 s37, s36
	v_cvt_f32_u32_e32 v1, s37
	s_sub_i32 s41, 0, s37
	s_abs_i32 s40, s8
	s_xor_b32 s36, s8, s36
	v_rcp_iflag_f32_e32 v1, v1
	s_ashr_i32 s36, s36, 31
	s_load_dwordx8 s[20:27], s[4:5], 0x2a0
	s_movk_i32 s32, 0x7800
	v_mul_f32_e32 v1, 0x4f7ffffe, v1
	v_cvt_u32_f32_e32 v1, v1
	v_readfirstlane_b32 s48, v1
	s_mul_i32 s41, s41, s48
	s_mul_hi_u32 s41, s48, s41
	s_add_i32 s48, s48, s41
	s_mul_hi_u32 s41, s40, s48
	s_mul_i32 s48, s41, s37
	s_sub_i32 s40, s40, s48
	s_add_i32 s48, s41, 1
	s_sub_i32 s49, s40, s37
	s_cmp_ge_u32 s40, s37
	s_cselect_b32 s41, s48, s41
	s_cselect_b32 s40, s49, s40
	s_add_i32 s48, s41, 1
	s_cmp_ge_u32 s40, s37
	s_cselect_b32 s37, s48, s41
	s_xor_b32 s37, s37, s36
	s_sub_i32 s36, s37, s36
	s_ashr_i32 s37, s36, 31
	s_waitcnt lgkmcnt(0)
	s_mul_i32 s40, s20, s37
	s_mul_hi_u32 s41, s20, s36
	s_add_i32 s40, s41, s40
	s_mul_i32 s21, s21, s36
	s_add_i32 s21, s40, s21
	s_mul_i32 s40, s22, s37
	s_mul_hi_u32 s41, s22, s36
	s_add_i32 s40, s41, s40
	s_mul_i32 s23, s23, s36
	s_add_i32 s23, s40, s23
	;; [unrolled: 5-line block ×4, first 2 shown]
	s_mul_i32 s24, s24, s36
	s_add_u32 s40, s16, s24
	s_mul_i32 s20, s20, s36
	s_addc_u32 s41, s17, s37
	s_mul_i32 s22, s22, s36
	s_mul_i32 s26, s26, s36
	s_add_u32 s36, s12, s20
	s_addc_u32 s37, s13, s21
	s_add_u32 s48, s14, s22
	s_addc_u32 s49, s15, s23
	s_add_u32 s12, s18, s26
	s_mul_hi_u32 s14, s63, s8
	s_addc_u32 s13, s19, s27
	s_add_i32 s14, s8, s14
	s_lshr_b32 s14, s14, s59
	s_mul_i32 s15, s14, s55
	s_sub_i32 s8, s8, s15
	s_mul_hi_u32 s15, s14, s62
	s_add_i32 s15, s14, s15
	s_lshr_b32 s15, s15, s58
	s_mul_i32 s16, s15, s54
	s_sub_i32 s14, s14, s16
	s_mul_hi_u32 s16, s15, s61
	s_add_i32 s16, s15, s16
	s_lshr_b32 s16, s16, s57
	v_lshlrev_b32_e32 v1, 3, v0
	s_mul_i32 s17, s16, s53
	v_and_b32_e32 v23, 8, v1
	s_sub_i32 s15, s15, s17
	s_mul_hi_u32 s17, s16, s60
	v_mul_lo_u32 v25, s80, v23
	s_add_i32 s17, s16, s17
	v_mul_hi_u32 v1, v25, s75
	s_lshr_b32 s17, s17, s56
	v_add_u32_e32 v1, v25, v1
	s_mul_i32 s17, s17, s52
	v_lshrrev_b32_e32 v1, s73, v1
	s_sub_i32 s16, s16, s17
	v_mul_lo_u32 v2, v1, s71
	s_mul_i32 s16, s16, s39
	v_sub_u32_e32 v4, v25, v2
	v_mul_hi_u32 v2, v1, s74
	s_mul_i32 s15, s15, s51
	s_add_i32 s14, s14, s16
	v_add_u32_e32 v2, v1, v2
	s_add_i32 s8, s8, s15
	s_lshl_b32 s15, s14, 7
	v_lshrrev_b32_e32 v5, s72, v2
	v_or_b32_e32 v24, s15, v21
	v_mul_lo_u32 v2, v5, s70
	v_sub_u32_e32 v6, v1, v2
	v_mul_hi_u32 v1, v24, s77
	v_add_u32_e32 v1, v24, v1
	v_lshrrev_b32_e32 v1, s11, v1
	v_mul_lo_u32 v2, v1, s7
	v_sub_u32_e32 v3, v24, v2
	v_mul_hi_u32 v2, v1, s76
	v_add_u32_e32 v2, v1, v2
	v_lshrrev_b32_e32 v7, s10, v2
	v_mul_lo_u32 v2, v7, s6
	v_sub_u32_e32 v1, v1, v2
	v_mul_lo_u32 v2, v6, s68
	v_mad_u64_u32 v[16:17], s[6:7], v3, s69, v[2:3]
	v_mul_lo_u32 v2, v5, s66
	v_mad_u64_u32 v[18:19], s[6:7], v1, s67, v[2:3]
	v_subrev_u32_e32 v2, s29, v18
	v_subrev_u32_e32 v1, s64, v16
	v_mul_lo_u32 v8, v2, s45
	v_mul_lo_u32 v2, v4, s47
	v_mad_u64_u32 v[2:3], s[6:7], v1, s46, v[2:3]
	v_mul_lo_u32 v7, v7, s44
	v_lshrrev_b32_e32 v1, 5, v0
	v_lshlrev_b32_e32 v3, 1, v0
	v_add3_u32 v7, v2, v7, v8
	v_lshlrev_b32_e32 v2, 6, v1
	v_and_b32_e32 v8, 0x1f8, v3
	v_sub_u32_e32 v2, v8, v2
	v_lshlrev_b32_e32 v0, 2, v0
	v_and_or_b32 v35, v0, 4, v2
	v_and_b32_e32 v0, 0x1fc, v3
	v_sub_u32_e32 v0, v0, v8
	v_lshl_add_u32 v36, v1, 3, v0
	v_lshlrev_b32_e32 v0, 2, v36
	buffer_store_dword v34, off, s[0:3], 0 offset:64
	buffer_store_dword v36, off, s[0:3], 0 offset:68
	;; [unrolled: 1-line block ×12, first 2 shown]
	v_lshlrev_b32_e32 v0, 2, v35
	s_mov_b64 s[6:7], src_shared_base
	buffer_store_dword v0, off, s[0:3], 0 offset:112
	buffer_store_dword v34, off, s[0:3], 0 offset:116
	;; [unrolled: 1-line block ×72, first 2 shown]
	v_mov_b32_e32 v0, s7
	v_mov_b32_e32 v1, 0x4000
	buffer_store_dword v0, off, s[0:3], 0 offset:404
	buffer_store_dword v34, off, s[0:3], 0 offset:400
	buffer_store_byte v34, off, s[0:3], 0 offset:409
	buffer_store_dword v0, off, s[0:3], 0 offset:420
	buffer_store_dword v1, off, s[0:3], 0 offset:416
	buffer_store_byte v34, off, s[0:3], 0 offset:425
	buffer_store_dword v0, off, s[0:3], 0 offset:436
	v_mov_b32_e32 v1, 0x2000
	s_lshl_b32 s14, s80, 2
	buffer_store_dword v1, off, s[0:3], 0 offset:432
	buffer_store_byte v34, off, s[0:3], 0 offset:441
	buffer_store_dword v0, off, s[0:3], 0 offset:452
	v_mov_b32_e32 v0, 0x6000
	v_add_u32_e32 v20, s14, v25
	buffer_store_dword v0, off, s[0:3], 0 offset:448
	buffer_store_byte v34, off, s[0:3], 0 offset:457
	v_mul_hi_u32 v0, v20, s75
	v_add_u32_e32 v0, v20, v0
	v_lshrrev_b32_e32 v8, s73, v0
	v_mul_hi_u32 v9, v8, s74
	v_add_u32_e32 v9, v8, v9
	v_lshrrev_b32_e32 v19, s72, v9
	s_mov_b32 s39, 0x20000
	v_mul_lo_u32 v0, v8, s71
	v_mul_lo_u32 v9, v19, s70
	v_sub_u32_e32 v17, v20, v0
	buffer_load_dwordx4 v[0:3], v7, s[36:39], 0 offen
	v_sub_u32_e32 v26, v8, v9
	v_sub_u32_e32 v4, v17, v4
	;; [unrolled: 1-line block ×4, first 2 shown]
	v_mul_lo_u32 v27, v6, s68
	v_mul_lo_u32 v28, v5, s66
	;; [unrolled: 1-line block ×4, first 2 shown]
	v_mad_u64_u32 v[4:5], s[6:7], v28, s45, v[4:5]
	v_add3_u32 v29, v4, v6, v7
	s_lshl_b32 s22, s8, 7
	buffer_load_dwordx4 v[4:7], v29, s[36:39], 0 offen
	v_or_b32_e32 v30, s22, v21
	v_mul_lo_u32 v22, s79, v23
	v_mad_u64_u32 v[12:13], s[6:7], v30, s9, v[22:23]
	s_mov_b32 s51, s39
	buffer_load_dwordx4 v[8:11], v12, s[48:51], 0 offen
	s_lshl_b32 s24, s79, 2
	v_add_u32_e32 v31, s24, v12
	buffer_load_dwordx4 v[12:15], v31, s[48:51], 0 offen
	s_load_dword s26, s[4:5], 0xf0
	s_load_dword s6, s[4:5], 0xe4
	s_sub_i32 s27, s31, s65
	v_cmp_le_i32_e64 s[8:9], s64, v16
	v_cmp_gt_i32_e64 s[10:11], s27, v16
	s_waitcnt lgkmcnt(0)
	v_cmp_gt_i32_e32 vcc, s26, v25
	s_and_b64 s[8:9], s[8:9], s[10:11]
	s_sub_i32 s25, s28, s30
	s_and_b64 s[10:11], vcc, s[8:9]
	v_cmp_le_i32_e32 vcc, s29, v18
	v_cmp_gt_i32_e64 s[8:9], s25, v18
	s_and_b64 s[8:9], vcc, s[8:9]
	v_cmp_gt_i32_e64 s[6:7], s6, v24
	s_and_b64 s[8:9], s[10:11], s[8:9]
	v_add_u32_e32 v38, v16, v27
	s_and_b64 vcc, s[6:7], s[8:9]
	v_cmp_le_i32_e64 s[8:9], s64, v38
	v_cmp_gt_i32_e64 s[10:11], s27, v38
	v_add_u32_e32 v39, v18, v28
	s_and_b64 s[8:9], s[8:9], s[10:11]
	v_lshlrev_b32_e32 v21, 2, v21
	s_mov_b32 s23, 0x3020104
	v_lshl_or_b32 v37, v23, 9, v21
	v_add_u32_e32 v40, s24, v22
	s_mul_i32 s79, s79, 12
	v_add_u32_e32 v16, s79, v31
	s_mov_b64 s[18:19], src_private_base
	s_waitcnt vmcnt(3)
	v_cndmask_b32_e32 v3, 0, v3, vcc
	v_cndmask_b32_e32 v2, 0, v2, vcc
	;; [unrolled: 1-line block ×4, first 2 shown]
	v_cmp_gt_i32_e32 vcc, s26, v20
	s_and_b64 s[10:11], vcc, s[8:9]
	v_cmp_le_i32_e32 vcc, s29, v39
	v_cmp_gt_i32_e64 s[8:9], s25, v39
	s_and_b64 s[8:9], vcc, s[8:9]
	s_and_b64 s[8:9], s[10:11], s[8:9]
	s_and_b64 vcc, s[6:7], s[8:9]
	v_perm_b32 v0, v0, v0, s23
	v_cmp_gt_i32_e64 s[8:9], s43, v22
	s_waitcnt vmcnt(2)
	v_cndmask_b32_e32 v7, 0, v7, vcc
	v_cndmask_b32_e32 v6, 0, v6, vcc
	;; [unrolled: 1-line block ×4, first 2 shown]
	v_cmp_gt_i32_e32 vcc, s81, v30
	ds_write2st64_b32 v37, v0, v1 offset1:2
	v_perm_b32 v0, v2, v2, s23
	s_and_b64 s[8:9], s[8:9], vcc
	ds_write2st64_b32 v37, v0, v3 offset0:4 offset1:6
	v_perm_b32 v0, v4, v4, s23
	s_waitcnt vmcnt(1)
	v_cndmask_b32_e64 v11, 0, v11, s[8:9]
	v_cndmask_b32_e64 v10, 0, v10, s[8:9]
	v_cndmask_b32_e64 v9, 0, v9, s[8:9]
	v_cndmask_b32_e64 v8, 0, v8, s[8:9]
	v_cmp_gt_i32_e64 s[8:9], s43, v40
	ds_write2st64_b32 v37, v0, v5 offset0:8 offset1:10
	v_perm_b32 v0, v6, v6, s23
	s_and_b64 s[8:9], s[8:9], vcc
	ds_write2st64_b32 v37, v0, v7 offset0:12 offset1:14
	v_perm_b32 v0, v8, v8, s23
	s_waitcnt vmcnt(0)
	v_cndmask_b32_e64 v12, 0, v12, s[8:9]
	ds_write2st64_b32 v37, v0, v9 offset0:64 offset1:66
	v_perm_b32 v0, v10, v10, s23
	v_cndmask_b32_e64 v14, 0, v14, s[8:9]
	v_cndmask_b32_e64 v13, 0, v13, s[8:9]
	ds_write2st64_b32 v37, v0, v11 offset0:68 offset1:70
	v_perm_b32 v0, v12, v12, s23
	v_cndmask_b32_e64 v15, 0, v15, s[8:9]
	ds_write2st64_b32 v37, v0, v13 offset0:72 offset1:74
	v_perm_b32 v0, v14, v14, s23
	ds_write2st64_b32 v37, v0, v15 offset0:76 offset1:78
	s_waitcnt lgkmcnt(0)
	s_barrier
	buffer_load_dword v21, off, s[0:3], 0 offset:80
	buffer_load_dword v24, off, s[0:3], 0 offset:112
	buffer_load_dword v25, off, s[0:3], 0 offset:416
	buffer_load_dword v27, off, s[0:3], 0 offset:420
	s_waitcnt vmcnt(3)
	v_mad_u64_u32 v[32:33], s[8:9], s80, 12, v[20:21]
	v_mul_hi_u32 v0, v32, s75
	v_add_u32_e32 v0, v32, v0
	v_lshrrev_b32_e32 v1, s73, v0
	v_mul_hi_u32 v2, v1, s74
	v_add_u32_e32 v2, v1, v2
	v_lshrrev_b32_e32 v6, s72, v2
	v_mul_lo_u32 v0, v1, s71
	v_mul_lo_u32 v2, v6, s70
	v_sub_u32_e32 v0, v32, v0
	v_sub_u32_e32 v2, v1, v2
	;; [unrolled: 1-line block ×5, first 2 shown]
	v_mul_lo_u32 v33, v1, s68
	v_mul_lo_u32 v41, v4, s66
	;; [unrolled: 1-line block ×4, first 2 shown]
	v_mad_u64_u32 v[4:5], s[8:9], v41, s45, v[4:5]
	v_add_u32_e32 v42, s14, v32
	v_add3_u32 v3, v4, v1, v29
	v_mul_hi_u32 v1, v42, s75
	v_add_u32_e32 v1, v42, v1
	v_lshrrev_b32_e32 v4, s73, v1
	v_mad_u64_u32 v[0:1], s[8:9], v4, s71, v[0:1]
	v_sub_u32_e32 v5, v42, v0
	v_mul_hi_u32 v0, v4, s74
	v_add_u32_e32 v0, v4, v0
	v_lshrrev_b32_e32 v7, s72, v0
	v_mad_u64_u32 v[0:1], s[8:9], v7, s70, v[2:3]
	v_sub_u32_e32 v0, v4, v0
	v_sub_u32_e32 v1, v7, v6
	v_mul_lo_u32 v43, v0, s68
	v_mul_lo_u32 v44, v1, s66
	;; [unrolled: 1-line block ×4, first 2 shown]
	v_mad_u64_u32 v[0:1], s[8:9], v44, s45, v[0:1]
	v_add3_u32 v4, v0, v2, v3
	buffer_load_dwordx4 v[0:3], v3, s[36:39], 0 offen
	s_nop 0
	buffer_load_dwordx4 v[4:7], v4, s[36:39], 0 offen
	v_add_u32_e32 v17, s24, v16
	buffer_load_dwordx4 v[8:11], v16, s[48:51], 0 offen
	buffer_load_dwordx4 v[12:15], v17, s[48:51], 0 offen
	s_nop 0
	buffer_store_dword v34, off, s[0:3], 0 offset:16
	buffer_store_dword v34, off, s[0:3], 0 offset:20
	;; [unrolled: 1-line block ×9, first 2 shown]
	buffer_load_dword v45, off, s[0:3], 0 offset:148
	buffer_load_dword v46, off, s[0:3], 0 offset:152
	;; [unrolled: 1-line block ×4, first 2 shown]
	ds_read_b128 v[16:19], v21
	buffer_store_dword v34, off, s[0:3], 0 offset:52
	buffer_store_dword v34, off, s[0:3], 0 offset:56
	;; [unrolled: 1-line block ×3, first 2 shown]
	s_waitcnt vmcnt(22)
	v_ashrrev_i32_e32 v26, 31, v24
	s_waitcnt vmcnt(21)
	v_add_co_u32_e64 v28, s[8:9], v25, v24
	ds_read_b128 v[20:23], v21 offset:256
	s_waitcnt lgkmcnt(1)
	buffer_store_dword v16, off, s[0:3], 0
	buffer_store_dword v17, off, s[0:3], 0 offset:4
	buffer_store_dword v18, off, s[0:3], 0 offset:8
	buffer_store_dword v19, off, s[0:3], 0 offset:12
	s_waitcnt vmcnt(24)
	v_addc_co_u32_e64 v29, s[8:9], v27, v26, s[8:9]
	flat_load_dwordx4 v[24:27], v[28:29]
	v_add_u32_e32 v33, v38, v33
	buffer_load_dword v49, off, s[0:3], 0 offset:188
	buffer_load_dword v50, off, s[0:3], 0 offset:144
	s_waitcnt vmcnt(0) lgkmcnt(0)
	buffer_store_dword v24, off, s[0:3], 0 offset:32
	buffer_store_dword v25, off, s[0:3], 0 offset:36
	;; [unrolled: 1-line block ×4, first 2 shown]
	v_cmp_le_i32_e64 s[8:9], s64, v33
	v_cmp_gt_i32_e64 s[10:11], s27, v33
	flat_load_dwordx4 v[28:31], v[28:29] offset:256
	s_load_dwordx2 s[16:17], s[4:5], 0x1e8
	s_load_dword s20, s[4:5], 0x1f4
	s_load_dword s21, s[4:5], 0x200
	;; [unrolled: 1-line block ×3, first 2 shown]
	v_add_u32_e32 v38, v39, v41
	v_cmp_gt_i32_e64 s[4:5], s26, v32
	s_and_b64 s[8:9], s[8:9], s[10:11]
	s_and_b64 s[10:11], s[4:5], s[8:9]
	v_cmp_le_i32_e64 s[4:5], s29, v38
	v_cmp_gt_i32_e64 s[8:9], s25, v38
	s_and_b64 s[4:5], s[4:5], s[8:9]
	s_and_b64 s[4:5], s[10:11], s[4:5]
	v_add_u32_e32 v33, v33, v43
	s_and_b64 s[4:5], s[6:7], s[4:5]
	v_cmp_le_i32_e64 s[8:9], s64, v33
	v_cmp_gt_i32_e64 s[10:11], s27, v33
	v_add_u32_e32 v39, s79, v40
	v_cndmask_b32_e64 v40, 0, v3, s[4:5]
	v_cndmask_b32_e64 v41, 0, v2, s[4:5]
	;; [unrolled: 1-line block ×4, first 2 shown]
	v_add_u32_e32 v38, v38, v44
	v_cmp_gt_i32_e64 s[4:5], s26, v42
	s_and_b64 s[8:9], s[8:9], s[10:11]
	s_and_b64 s[10:11], s[4:5], s[8:9]
	v_cmp_le_i32_e64 s[4:5], s29, v38
	v_cmp_gt_i32_e64 s[8:9], s25, v38
	s_and_b64 s[4:5], s[4:5], s[8:9]
	s_and_b64 s[4:5], s[10:11], s[4:5]
	;; [unrolled: 1-line block ×3, first 2 shown]
	v_cndmask_b32_e64 v61, 0, v7, s[4:5]
	v_cndmask_b32_e64 v62, 0, v6, s[4:5]
	;; [unrolled: 1-line block ×4, first 2 shown]
	v_cmp_gt_i32_e64 s[4:5], s43, v39
	s_and_b64 s[4:5], s[4:5], vcc
	buffer_load_dword v51, off, s[0:3], 0 offset:176
	buffer_load_dword v52, off, s[0:3], 0 offset:180
	;; [unrolled: 1-line block ×24, first 2 shown]
	v_cndmask_b32_e64 v67, 0, v11, s[4:5]
	buffer_load_dword v11, off, s[0:3], 0 offset:264
	v_cndmask_b32_e64 v68, 0, v10, s[4:5]
	buffer_load_dword v10, off, s[0:3], 0 offset:268
	v_cndmask_b32_e64 v70, 0, v8, s[4:5]
	v_add_u32_e32 v8, s24, v39
	v_cndmask_b32_e64 v69, 0, v9, s[4:5]
	v_cmp_gt_i32_e64 s[4:5], s43, v8
	s_and_b64 vcc, s[4:5], vcc
	s_waitcnt vmcnt(0) lgkmcnt(0)
	buffer_store_dword v28, off, s[0:3], 0 offset:48
	buffer_store_dword v29, off, s[0:3], 0 offset:52
	;; [unrolled: 1-line block ×8, first 2 shown]
	v_dot4c_i32_i8_e32 v50, v16, v24
	v_dot4c_i32_i8_e32 v45, v16, v25
	;; [unrolled: 1-line block ×6, first 2 shown]
	v_mov_b32_e32 v8, 0x90
	v_mov_b32_e32 v9, s19
	v_cndmask_b32_e32 v39, 0, v15, vcc
	v_cndmask_b32_e32 v71, 0, v14, vcc
	;; [unrolled: 1-line block ×4, first 2 shown]
	buffer_store_dword v50, off, s[0:3], 0 offset:144
	buffer_store_dword v45, off, s[0:3], 0 offset:148
	;; [unrolled: 1-line block ×6, first 2 shown]
	s_getpc_b64 s[6:7]
	s_add_u32 s6, s6, _ZNK2ck6detail15static_for_implINS_8SequenceIJLi1ELi2ELi3ELi4ELi5ELi6ELi7ELi8ELi9ELi10ELi11ELi12ELi13ELi14ELi15EEEEEclIZNKS_80BlockwiseGemmDl_A_BK0_BM_BK1_B_BK0_BN_BK1_C_BM0_BM1_BN0_BN1_pipeline_BM0_2_BN0_2ILi256EaaiKNS_16TensorDescriptorINS_5TupleIJNS_5EmbedINS8_IJNS_17integral_constantIiLi16EEENSA_IiLi128EEENSA_IiLi4EEEEEENS8_IJNSA_IiLi512EEESD_NSA_IiLi1EEEEEELb0EEEEEENS8_IJNS2_IJLi0EEEEEEENS8_IJNS2_IJLi1ELi2ELi3EEEEEEESM_NSA_IlLl8192EEEEESQ_Li4ELi4ELi1ENS2_IJLi8ELi2EEEESR_Li4ELi4ELb0EE3RunINS7_INS8_IJNS_7UnMergeINS8_IJNSA_IiLi2EEESD_SV_SD_EEELb0EEEEEESL_NS8_IJNS2_IJLi1ELi2ELi3ELi4EEEEEEESZ_NSA_IlLl64EEEEENS_13DynamicBufferILNS_16AddressSpaceEnumE2EaSO_Lb1ELNS_22AmdBufferCoherenceEnumE0EiEES16_NS_12StaticBufferILS14_4EiLi64ELb1EEEEEvRKT_RKT0_RKT1_RT2_EUlS19_E_EEvS19_@rel32@lo+4
	s_addc_u32 s7, s7, _ZNK2ck6detail15static_for_implINS_8SequenceIJLi1ELi2ELi3ELi4ELi5ELi6ELi7ELi8ELi9ELi10ELi11ELi12ELi13ELi14ELi15EEEEEclIZNKS_80BlockwiseGemmDl_A_BK0_BM_BK1_B_BK0_BN_BK1_C_BM0_BM1_BN0_BN1_pipeline_BM0_2_BN0_2ILi256EaaiKNS_16TensorDescriptorINS_5TupleIJNS_5EmbedINS8_IJNS_17integral_constantIiLi16EEENSA_IiLi128EEENSA_IiLi4EEEEEENS8_IJNSA_IiLi512EEESD_NSA_IiLi1EEEEEELb0EEEEEENS8_IJNS2_IJLi0EEEEEEENS8_IJNS2_IJLi1ELi2ELi3EEEEEEESM_NSA_IlLl8192EEEEESQ_Li4ELi4ELi1ENS2_IJLi8ELi2EEEESR_Li4ELi4ELb0EE3RunINS7_INS8_IJNS_7UnMergeINS8_IJNSA_IiLi2EEESD_SV_SD_EEELb0EEEEEESL_NS8_IJNS2_IJLi1ELi2ELi3ELi4EEEEEEESZ_NSA_IlLl64EEEEENS_13DynamicBufferILNS_16AddressSpaceEnumE2EaSO_Lb1ELNS_22AmdBufferCoherenceEnumE0EiEES16_NS_12StaticBufferILS14_4EiLi64ELb1EEEEEvRKT_RKT0_RKT1_RT2_EUlS19_E_EEvS19_@rel32@hi+12
	v_dot4c_i32_i8_e32 v51, v17, v24
	v_dot4c_i32_i8_e32 v52, v17, v25
	;; [unrolled: 1-line block ×8, first 2 shown]
	buffer_store_dword v3, off, s[0:3], 0 offset:212
	buffer_store_dword v2, off, s[0:3], 0 offset:216
	buffer_store_dword v1, off, s[0:3], 0 offset:220
	buffer_store_dword v0, off, s[0:3], 0 offset:240
	v_dot4c_i32_i8_e32 v43, v19, v25
	v_dot4c_i32_i8_e32 v44, v19, v26
	;; [unrolled: 1-line block ×16, first 2 shown]
	buffer_store_dword v7, off, s[0:3], 0 offset:224
	buffer_store_dword v6, off, s[0:3], 0 offset:228
	;; [unrolled: 1-line block ×4, first 2 shown]
	v_dot4c_i32_i8_e32 v65, v19, v28
	v_dot4c_i32_i8_e32 v66, v19, v29
	buffer_store_dword v11, off, s[0:3], 0 offset:264
	buffer_store_dword v10, off, s[0:3], 0 offset:268
	v_mov_b32_e32 v0, 64
	v_mov_b32_e32 v1, s19
	;; [unrolled: 1-line block ×10, first 2 shown]
	buffer_store_dword v51, off, s[0:3], 0 offset:176
	buffer_store_dword v52, off, s[0:3], 0 offset:180
	;; [unrolled: 1-line block ×16, first 2 shown]
	s_swappc_b64 s[30:31], s[6:7]
	buffer_load_dword v0, off, s[0:3], 0 offset:32
	buffer_load_dword v1, off, s[0:3], 0 offset:36
	;; [unrolled: 1-line block ×46, first 2 shown]
	s_waitcnt vmcnt(39)
	v_dot4c_i32_i8_e32 v6, v4, v0
	s_waitcnt vmcnt(38)
	v_dot4c_i32_i8_e32 v7, v4, v1
	s_waitcnt vmcnt(37)
	v_dot4c_i32_i8_e32 v8, v4, v2
	s_waitcnt vmcnt(36)
	v_dot4c_i32_i8_e32 v9, v4, v3
	s_waitcnt vmcnt(35)
	v_dot4c_i32_i8_e32 v10, v5, v0
	s_waitcnt vmcnt(34)
	v_dot4c_i32_i8_e32 v11, v5, v1
	s_waitcnt vmcnt(33)
	v_dot4c_i32_i8_e32 v12, v5, v2
	s_waitcnt vmcnt(32)
	v_dot4c_i32_i8_e32 v13, v5, v3
	s_waitcnt vmcnt(30)
	v_dot4c_i32_i8_e32 v15, v14, v0
	s_waitcnt vmcnt(29)
	v_dot4c_i32_i8_e32 v16, v14, v1
	s_waitcnt vmcnt(28)
	v_dot4c_i32_i8_e32 v17, v14, v2
	s_waitcnt vmcnt(27)
	v_dot4c_i32_i8_e32 v18, v14, v3
	s_waitcnt vmcnt(25)
	v_dot4c_i32_i8_e32 v20, v19, v0
	s_waitcnt vmcnt(24)
	v_dot4c_i32_i8_e32 v21, v19, v1
	s_waitcnt vmcnt(23)
	v_dot4c_i32_i8_e32 v22, v19, v2
	v_perm_b32 v2, v55, v55, s23
	s_waitcnt vmcnt(22)
	v_dot4c_i32_i8_e32 v23, v19, v3
	v_perm_b32 v3, v68, v68, s23
	s_waitcnt vmcnt(17)
	v_dot4c_i32_i8_e32 v28, v4, v24
	s_waitcnt vmcnt(16)
	v_dot4c_i32_i8_e32 v29, v4, v27
	;; [unrolled: 2-line block ×16, first 2 shown]
	buffer_store_dword v6, off, s[0:3], 0 offset:272
	buffer_store_dword v7, off, s[0:3], 0 offset:276
	;; [unrolled: 1-line block ×18, first 2 shown]
	s_waitcnt vmcnt(18)
	v_add_co_u32_e32 v0, vcc, v52, v37
	v_addc_co_u32_e32 v1, vcc, 0, v51, vcc
	buffer_store_dword v30, off, s[0:3], 0 offset:296
	buffer_store_dword v31, off, s[0:3], 0 offset:300
	;; [unrolled: 1-line block ×14, first 2 shown]
	flat_store_dword v[0:1], v2
	flat_store_dword v[0:1], v54 offset:512
	v_perm_b32 v2, v41, v41, s23
	flat_store_dword v[0:1], v2 offset:1024
	flat_store_dword v[0:1], v40 offset:1536
	v_perm_b32 v2, v64, v64, s23
	flat_store_dword v[0:1], v2 offset:2048
	;; [unrolled: 3-line block ×3, first 2 shown]
	flat_store_dword v[0:1], v61 offset:3584
	buffer_load_dword v4, off, s[0:3], 0 offset:448
	buffer_load_dword v5, off, s[0:3], 0 offset:452
	v_perm_b32 v2, v70, v70, s23
	v_perm_b32 v6, v73, v73, s23
	;; [unrolled: 1-line block ×3, first 2 shown]
	s_waitcnt vmcnt(0)
	v_add_co_u32_e32 v0, vcc, v4, v37
	v_addc_co_u32_e32 v1, vcc, 0, v5, vcc
	flat_store_dword v[0:1], v2
	flat_store_dword v[0:1], v69 offset:512
	flat_store_dword v[0:1], v3 offset:1024
	;; [unrolled: 1-line block ×7, first 2 shown]
	s_waitcnt lgkmcnt(0)
	s_barrier
	buffer_load_dword v0, off, s[0:3], 0 offset:80
	s_nop 0
	buffer_store_dword v34, off, s[0:3], 0
	buffer_store_dword v34, off, s[0:3], 0 offset:4
	buffer_store_dword v34, off, s[0:3], 0 offset:8
	;; [unrolled: 1-line block ×15, first 2 shown]
	buffer_load_dword v6, off, s[0:3], 0 offset:112
	buffer_load_dword v16, off, s[0:3], 0 offset:160
	;; [unrolled: 1-line block ×5, first 2 shown]
	s_waitcnt vmcnt(0)
	v_ashrrev_i32_e32 v7, 31, v6
	v_ashrrev_i32_e32 v1, 31, v0
	v_add_co_u32_e32 v12, vcc, v52, v0
	v_addc_co_u32_e32 v13, vcc, v51, v1, vcc
	flat_load_dwordx4 v[0:3], v[12:13]
	v_add_co_u32_e32 v8, vcc, v4, v6
	buffer_load_dword v20, off, s[0:3], 0 offset:192
	buffer_load_dword v21, off, s[0:3], 0 offset:196
	;; [unrolled: 1-line block ×3, first 2 shown]
	v_addc_co_u32_e32 v9, vcc, v5, v7, vcc
	s_waitcnt vmcnt(0) lgkmcnt(0)
	buffer_store_dword v0, off, s[0:3], 0
	buffer_store_dword v1, off, s[0:3], 0 offset:4
	buffer_store_dword v2, off, s[0:3], 0 offset:8
	;; [unrolled: 1-line block ×3, first 2 shown]
	flat_load_dwordx4 v[4:7], v[8:9]
	s_waitcnt vmcnt(0) lgkmcnt(0)
	buffer_store_dword v4, off, s[0:3], 0 offset:32
	buffer_store_dword v5, off, s[0:3], 0 offset:36
	;; [unrolled: 1-line block ×4, first 2 shown]
	flat_load_dwordx4 v[8:11], v[8:9] offset:256
	s_nop 0
	buffer_load_dword v23, off, s[0:3], 0 offset:144
	buffer_load_dword v24, off, s[0:3], 0 offset:148
	;; [unrolled: 1-line block ×25, first 2 shown]
	v_dot4c_i32_i8_e32 v19, v0, v7
	v_dot4c_i32_i8_e32 v22, v1, v7
	s_waitcnt vmcnt(0) lgkmcnt(0)
	buffer_store_dword v8, off, s[0:3], 0 offset:48
	buffer_store_dword v9, off, s[0:3], 0 offset:52
	;; [unrolled: 1-line block ×4, first 2 shown]
	flat_load_dwordx4 v[12:15], v[12:13] offset:256
	v_dot4c_i32_i8_e32 v23, v0, v4
	v_dot4c_i32_i8_e32 v24, v0, v5
	;; [unrolled: 1-line block ×30, first 2 shown]
	v_mov_b32_e32 v0, 64
	v_mov_b32_e32 v1, s19
	;; [unrolled: 1-line block ×12, first 2 shown]
	buffer_store_dword v23, off, s[0:3], 0 offset:144
	buffer_store_dword v24, off, s[0:3], 0 offset:148
	buffer_store_dword v25, off, s[0:3], 0 offset:152
	buffer_store_dword v19, off, s[0:3], 0 offset:156
	buffer_store_dword v26, off, s[0:3], 0 offset:176
	buffer_store_dword v27, off, s[0:3], 0 offset:180
	buffer_store_dword v28, off, s[0:3], 0 offset:184
	buffer_store_dword v22, off, s[0:3], 0 offset:188
	buffer_store_dword v29, off, s[0:3], 0 offset:208
	buffer_store_dword v30, off, s[0:3], 0 offset:212
	buffer_store_dword v31, off, s[0:3], 0 offset:216
	buffer_store_dword v32, off, s[0:3], 0 offset:220
	buffer_store_dword v33, off, s[0:3], 0 offset:240
	buffer_store_dword v37, off, s[0:3], 0 offset:244
	buffer_store_dword v38, off, s[0:3], 0 offset:248
	buffer_store_dword v39, off, s[0:3], 0 offset:252
	buffer_store_dword v16, off, s[0:3], 0 offset:160
	buffer_store_dword v17, off, s[0:3], 0 offset:164
	buffer_store_dword v18, off, s[0:3], 0 offset:168
	buffer_store_dword v40, off, s[0:3], 0 offset:172
	buffer_store_dword v20, off, s[0:3], 0 offset:192
	buffer_store_dword v21, off, s[0:3], 0 offset:196
	buffer_store_dword v41, off, s[0:3], 0 offset:200
	buffer_store_dword v44, off, s[0:3], 0 offset:204
	buffer_store_dword v42, off, s[0:3], 0 offset:224
	buffer_store_dword v43, off, s[0:3], 0 offset:228
	buffer_store_dword v45, off, s[0:3], 0 offset:232
	buffer_store_dword v48, off, s[0:3], 0 offset:236
	buffer_store_dword v46, off, s[0:3], 0 offset:256
	buffer_store_dword v47, off, s[0:3], 0 offset:260
	buffer_store_dword v49, off, s[0:3], 0 offset:264
	buffer_store_dword v50, off, s[0:3], 0 offset:268
	s_waitcnt vmcnt(0) lgkmcnt(0)
	buffer_store_dword v12, off, s[0:3], 0 offset:16
	buffer_store_dword v13, off, s[0:3], 0 offset:20
	;; [unrolled: 1-line block ×4, first 2 shown]
	s_swappc_b64 s[30:31], s[6:7]
	buffer_load_dword v19, off, s[0:3], 0 offset:32
	buffer_load_dword v33, off, s[0:3], 0 offset:36
	;; [unrolled: 1-line block ×57, first 2 shown]
	s_mov_b32 s43, s39
	s_lshl_b32 s10, s35, 6
	s_lshl_b32 s8, s35, 7
	s_add_i32 s9, s10, s34
	s_sub_i32 s11, s9, s8
	s_lshl_b32 s18, s16, 6
	s_waitcnt vmcnt(50)
	v_dot4c_i32_i8_e32 v25, v39, v19
	s_waitcnt vmcnt(49)
	v_dot4c_i32_i8_e32 v24, v39, v33
	;; [unrolled: 2-line block ×12, first 2 shown]
	buffer_store_dword v25, off, s[0:3], 0 offset:272
	buffer_store_dword v24, off, s[0:3], 0 offset:276
	;; [unrolled: 1-line block ×12, first 2 shown]
	s_waitcnt vmcnt(48)
	v_dot4c_i32_i8_e32 v0, v42, v19
	s_waitcnt vmcnt(47)
	v_dot4c_i32_i8_e32 v1, v42, v33
	v_add_u32_e32 v33, s22, v35
	v_add_u32_e32 v35, s15, v36
	s_waitcnt vmcnt(46)
	v_dot4c_i32_i8_e32 v2, v42, v37
	s_waitcnt vmcnt(45)
	v_dot4c_i32_i8_e32 v3, v42, v38
	;; [unrolled: 2-line block ×4, first 2 shown]
	v_mul_lo_u32 v36, v35, s34
	s_waitcnt vmcnt(39)
	v_dot4c_i32_i8_e32 v31, v39, v45
	buffer_store_dword v0, off, s[0:3], 0 offset:368
	s_waitcnt vmcnt(38)
	v_dot4c_i32_i8_e32 v32, v39, v46
	s_waitcnt vmcnt(37)
	v_dot4c_i32_i8_e32 v21, v40, v43
	;; [unrolled: 2-line block ×13, first 2 shown]
	buffer_store_dword v1, off, s[0:3], 0 offset:372
	buffer_store_dword v2, off, s[0:3], 0 offset:376
	;; [unrolled: 1-line block ×19, first 2 shown]
	v_mad_u64_u32 v[36:37], s[4:5], v33, s35, v[36:37]
	buffer_load_dword v19, v36, s[40:43], 0 offen
	v_cmp_gt_i32_e64 s[4:5], s78, v33
	v_cmp_gt_i32_e64 s[6:7], s33, v35
	s_and_b64 vcc, s[6:7], s[4:5]
	v_add_u32_e32 v36, s10, v36
	v_add_u32_e32 v41, 64, v33
	s_mov_b32 s15, s39
	s_waitcnt vmcnt(0)
	v_cndmask_b32_e32 v19, 0, v19, vcc
	v_add_u16_sdwa v37, v19, v47 dst_sel:DWORD dst_unused:UNUSED_PAD src0_sel:BYTE_3 src1_sel:DWORD
	v_add_u16_sdwa v38, v19, v48 dst_sel:DWORD dst_unused:UNUSED_PAD src0_sel:WORD_1 src1_sel:DWORD
	v_add_u16_sdwa v39, v19, v49 dst_sel:DWORD dst_unused:UNUSED_PAD src0_sel:BYTE_1 src1_sel:DWORD
	v_add_u16_e32 v19, v19, v50
	v_max_i16_sdwa v40, sext(v19), v34 dst_sel:DWORD dst_unused:UNUSED_PAD src0_sel:BYTE_0 src1_sel:DWORD
	v_max_i16_sdwa v39, sext(v39), v34 dst_sel:DWORD dst_unused:UNUSED_PAD src0_sel:BYTE_0 src1_sel:DWORD
	;; [unrolled: 1-line block ×4, first 2 shown]
	buffer_store_dword v40, off, s[0:3], 0 offset:144
	buffer_store_dword v37, off, s[0:3], 0 offset:156
	;; [unrolled: 1-line block ×4, first 2 shown]
	buffer_load_dword v19, v36, s[40:43], 0 offen
	v_cmp_gt_i32_e32 vcc, s78, v41
	s_and_b64 s[6:7], s[6:7], vcc
	v_add_u32_e32 v36, s11, v36
	s_waitcnt vmcnt(0)
	v_cndmask_b32_e64 v19, 0, v19, s[6:7]
	v_add_u16_e32 v42, v19, v52
	v_add_u16_sdwa v43, v19, v53 dst_sel:DWORD dst_unused:UNUSED_PAD src0_sel:BYTE_3 src1_sel:DWORD
	v_add_u16_sdwa v44, v19, v58 dst_sel:DWORD dst_unused:UNUSED_PAD src0_sel:WORD_1 src1_sel:DWORD
	v_add_u16_sdwa v19, v19, v51 dst_sel:DWORD dst_unused:UNUSED_PAD src0_sel:BYTE_1 src1_sel:DWORD
	v_max_i16_sdwa v42, sext(v42), v34 dst_sel:DWORD dst_unused:UNUSED_PAD src0_sel:BYTE_0 src1_sel:DWORD
	v_max_i16_sdwa v19, sext(v19), v34 dst_sel:DWORD dst_unused:UNUSED_PAD src0_sel:BYTE_0 src1_sel:DWORD
	;; [unrolled: 1-line block ×4, first 2 shown]
	buffer_store_dword v42, off, s[0:3], 0 offset:160
	buffer_store_dword v43, off, s[0:3], 0 offset:172
	;; [unrolled: 1-line block ×4, first 2 shown]
	buffer_load_dword v19, v36, s[40:43], 0 offen
	v_or_b32_e32 v42, 1, v35
	v_cmp_gt_i32_e64 s[6:7], s33, v42
	s_and_b64 s[8:9], s[6:7], s[4:5]
	v_add_u32_e32 v36, s10, v36
	s_and_b64 s[6:7], s[6:7], vcc
	s_waitcnt vmcnt(0)
	v_cndmask_b32_e64 v19, 0, v19, s[8:9]
	v_add_u16_e32 v43, v19, v54
	v_add_u16_sdwa v44, v19, v57 dst_sel:DWORD dst_unused:UNUSED_PAD src0_sel:BYTE_3 src1_sel:DWORD
	v_add_u16_sdwa v45, v19, v56 dst_sel:DWORD dst_unused:UNUSED_PAD src0_sel:WORD_1 src1_sel:DWORD
	v_add_u16_sdwa v19, v19, v55 dst_sel:DWORD dst_unused:UNUSED_PAD src0_sel:BYTE_1 src1_sel:DWORD
	v_max_i16_sdwa v43, sext(v43), v34 dst_sel:DWORD dst_unused:UNUSED_PAD src0_sel:BYTE_0 src1_sel:DWORD
	v_max_i16_sdwa v19, sext(v19), v34 dst_sel:DWORD dst_unused:UNUSED_PAD src0_sel:BYTE_0 src1_sel:DWORD
	;; [unrolled: 1-line block ×4, first 2 shown]
	buffer_store_dword v43, off, s[0:3], 0 offset:176
	buffer_store_dword v44, off, s[0:3], 0 offset:188
	;; [unrolled: 1-line block ×4, first 2 shown]
	buffer_load_dword v19, v36, s[40:43], 0 offen
	s_nop 0
	buffer_load_dword v43, off, s[0:3], 0 offset:192
	buffer_load_dword v44, off, s[0:3], 0 offset:204
	;; [unrolled: 1-line block ×8, first 2 shown]
	v_add_u32_e32 v36, s11, v36
	s_waitcnt vmcnt(8)
	v_cndmask_b32_e64 v19, 0, v19, s[6:7]
	s_waitcnt vmcnt(7)
	v_add_u16_e32 v43, v19, v43
	s_waitcnt vmcnt(6)
	v_add_u16_sdwa v44, v19, v44 dst_sel:DWORD dst_unused:UNUSED_PAD src0_sel:BYTE_3 src1_sel:DWORD
	s_waitcnt vmcnt(5)
	v_add_u16_sdwa v45, v19, v45 dst_sel:DWORD dst_unused:UNUSED_PAD src0_sel:WORD_1 src1_sel:DWORD
	s_waitcnt vmcnt(4)
	v_add_u16_sdwa v19, v19, v46 dst_sel:DWORD dst_unused:UNUSED_PAD src0_sel:BYTE_1 src1_sel:DWORD
	v_max_i16_sdwa v43, sext(v43), v34 dst_sel:DWORD dst_unused:UNUSED_PAD src0_sel:BYTE_0 src1_sel:DWORD
	v_max_i16_sdwa v19, sext(v19), v34 dst_sel:DWORD dst_unused:UNUSED_PAD src0_sel:BYTE_0 src1_sel:DWORD
	;; [unrolled: 1-line block ×4, first 2 shown]
	buffer_store_dword v43, off, s[0:3], 0 offset:192
	buffer_store_dword v44, off, s[0:3], 0 offset:204
	;; [unrolled: 1-line block ×4, first 2 shown]
	buffer_load_dword v19, v36, s[40:43], 0 offen
	v_or_b32_e32 v43, 2, v35
	v_cmp_gt_i32_e64 s[6:7], s33, v43
	s_and_b64 s[8:9], s[6:7], s[4:5]
	v_add_u32_e32 v36, s10, v36
	s_and_b64 s[6:7], s[6:7], vcc
	s_waitcnt vmcnt(0)
	v_cndmask_b32_e64 v19, 0, v19, s[8:9]
	v_add_u16_e32 v44, v19, v47
	v_add_u16_sdwa v45, v19, v50 dst_sel:DWORD dst_unused:UNUSED_PAD src0_sel:BYTE_3 src1_sel:DWORD
	v_add_u16_sdwa v46, v19, v49 dst_sel:DWORD dst_unused:UNUSED_PAD src0_sel:WORD_1 src1_sel:DWORD
	v_add_u16_sdwa v19, v19, v48 dst_sel:DWORD dst_unused:UNUSED_PAD src0_sel:BYTE_1 src1_sel:DWORD
	v_max_i16_sdwa v44, sext(v44), v34 dst_sel:DWORD dst_unused:UNUSED_PAD src0_sel:BYTE_0 src1_sel:DWORD
	v_max_i16_sdwa v19, sext(v19), v34 dst_sel:DWORD dst_unused:UNUSED_PAD src0_sel:BYTE_0 src1_sel:DWORD
	v_max_i16_sdwa v46, sext(v46), v34 dst_sel:DWORD dst_unused:UNUSED_PAD src0_sel:BYTE_0 src1_sel:DWORD
	v_max_i16_sdwa v45, sext(v45), v34 dst_sel:DWORD dst_unused:UNUSED_PAD src0_sel:BYTE_0 src1_sel:DWORD
	buffer_store_dword v44, off, s[0:3], 0 offset:208
	buffer_store_dword v45, off, s[0:3], 0 offset:220
	;; [unrolled: 1-line block ×4, first 2 shown]
	buffer_load_dword v19, v36, s[40:43], 0 offen
	s_nop 0
	buffer_load_dword v44, off, s[0:3], 0 offset:224
	buffer_load_dword v45, off, s[0:3], 0 offset:236
	;; [unrolled: 1-line block ×8, first 2 shown]
	v_add_u32_e32 v36, s11, v36
	s_waitcnt vmcnt(8)
	v_cndmask_b32_e64 v19, 0, v19, s[6:7]
	s_waitcnt vmcnt(7)
	v_add_u16_e32 v44, v19, v44
	s_waitcnt vmcnt(6)
	v_add_u16_sdwa v45, v19, v45 dst_sel:DWORD dst_unused:UNUSED_PAD src0_sel:BYTE_3 src1_sel:DWORD
	s_waitcnt vmcnt(5)
	v_add_u16_sdwa v46, v19, v46 dst_sel:DWORD dst_unused:UNUSED_PAD src0_sel:WORD_1 src1_sel:DWORD
	s_waitcnt vmcnt(4)
	v_add_u16_sdwa v19, v19, v47 dst_sel:DWORD dst_unused:UNUSED_PAD src0_sel:BYTE_1 src1_sel:DWORD
	v_max_i16_sdwa v44, sext(v44), v34 dst_sel:DWORD dst_unused:UNUSED_PAD src0_sel:BYTE_0 src1_sel:DWORD
	v_max_i16_sdwa v19, sext(v19), v34 dst_sel:DWORD dst_unused:UNUSED_PAD src0_sel:BYTE_0 src1_sel:DWORD
	;; [unrolled: 1-line block ×4, first 2 shown]
	buffer_store_dword v44, off, s[0:3], 0 offset:224
	buffer_store_dword v45, off, s[0:3], 0 offset:236
	;; [unrolled: 1-line block ×4, first 2 shown]
	buffer_load_dword v19, v36, s[40:43], 0 offen
	v_or_b32_e32 v44, 3, v35
	v_cmp_gt_i32_e64 s[6:7], s33, v44
	s_and_b64 s[8:9], s[6:7], s[4:5]
	v_add_u32_e32 v36, s10, v36
	s_and_b64 s[6:7], s[6:7], vcc
	s_waitcnt vmcnt(0)
	v_cndmask_b32_e64 v19, 0, v19, s[8:9]
	v_add_u16_e32 v45, v19, v48
	v_add_u16_sdwa v46, v19, v51 dst_sel:DWORD dst_unused:UNUSED_PAD src0_sel:BYTE_3 src1_sel:DWORD
	v_add_u16_sdwa v47, v19, v50 dst_sel:DWORD dst_unused:UNUSED_PAD src0_sel:WORD_1 src1_sel:DWORD
	v_add_u16_sdwa v19, v19, v49 dst_sel:DWORD dst_unused:UNUSED_PAD src0_sel:BYTE_1 src1_sel:DWORD
	v_max_i16_sdwa v45, sext(v45), v34 dst_sel:DWORD dst_unused:UNUSED_PAD src0_sel:BYTE_0 src1_sel:DWORD
	v_max_i16_sdwa v19, sext(v19), v34 dst_sel:DWORD dst_unused:UNUSED_PAD src0_sel:BYTE_0 src1_sel:DWORD
	;; [unrolled: 1-line block ×4, first 2 shown]
	buffer_store_dword v45, off, s[0:3], 0 offset:240
	buffer_store_dword v46, off, s[0:3], 0 offset:252
	;; [unrolled: 1-line block ×4, first 2 shown]
	buffer_load_dword v19, v36, s[40:43], 0 offen
	s_nop 0
	buffer_load_dword v45, off, s[0:3], 0 offset:256
	buffer_load_dword v46, off, s[0:3], 0 offset:264
	;; [unrolled: 1-line block ×3, first 2 shown]
	s_mul_i32 s8, s34, 60
	s_add_i32 s8, s11, s8
	v_add_u32_e32 v36, s8, v36
	s_waitcnt vmcnt(3)
	v_cndmask_b32_e64 v19, 0, v19, s[6:7]
	s_waitcnt vmcnt(2)
	v_add_u16_e32 v45, v19, v45
	v_add_u16_sdwa v48, v19, v59 dst_sel:DWORD dst_unused:UNUSED_PAD src0_sel:BYTE_3 src1_sel:DWORD
	s_waitcnt vmcnt(1)
	v_add_u16_sdwa v46, v19, v46 dst_sel:DWORD dst_unused:UNUSED_PAD src0_sel:WORD_1 src1_sel:DWORD
	s_waitcnt vmcnt(0)
	v_add_u16_sdwa v19, v19, v47 dst_sel:DWORD dst_unused:UNUSED_PAD src0_sel:BYTE_1 src1_sel:DWORD
	v_max_i16_sdwa v45, sext(v45), v34 dst_sel:DWORD dst_unused:UNUSED_PAD src0_sel:BYTE_0 src1_sel:DWORD
	v_max_i16_sdwa v19, sext(v19), v34 dst_sel:DWORD dst_unused:UNUSED_PAD src0_sel:BYTE_0 src1_sel:DWORD
	;; [unrolled: 1-line block ×4, first 2 shown]
	buffer_store_dword v45, off, s[0:3], 0 offset:256
	buffer_store_dword v47, off, s[0:3], 0 offset:268
	;; [unrolled: 1-line block ×4, first 2 shown]
	buffer_load_dword v45, v36, s[40:43], 0 offen
	v_add_u32_e32 v19, 64, v35
	v_cmp_gt_i32_e64 s[6:7], s33, v19
	s_and_b64 s[8:9], s[6:7], s[4:5]
	v_add_u32_e32 v36, s10, v36
	s_and_b64 s[6:7], s[6:7], vcc
	s_waitcnt vmcnt(0)
	v_cndmask_b32_e64 v45, 0, v45, s[8:9]
	v_add_u16_e32 v25, v45, v25
	v_add_u16_sdwa v27, v45, v27 dst_sel:DWORD dst_unused:UNUSED_PAD src0_sel:BYTE_3 src1_sel:DWORD
	v_add_u16_sdwa v26, v45, v26 dst_sel:DWORD dst_unused:UNUSED_PAD src0_sel:WORD_1 src1_sel:DWORD
	v_add_u16_sdwa v24, v45, v24 dst_sel:DWORD dst_unused:UNUSED_PAD src0_sel:BYTE_1 src1_sel:DWORD
	v_max_i16_sdwa v25, sext(v25), v34 dst_sel:DWORD dst_unused:UNUSED_PAD src0_sel:BYTE_0 src1_sel:DWORD
	v_max_i16_sdwa v24, sext(v24), v34 dst_sel:DWORD dst_unused:UNUSED_PAD src0_sel:BYTE_0 src1_sel:DWORD
	;; [unrolled: 1-line block ×4, first 2 shown]
	buffer_store_dword v25, off, s[0:3], 0 offset:272
	buffer_store_dword v27, off, s[0:3], 0 offset:284
	;; [unrolled: 1-line block ×4, first 2 shown]
	buffer_load_dword v24, v36, s[40:43], 0 offen
	v_add_u32_e32 v25, s11, v36
	s_waitcnt vmcnt(0)
	v_cndmask_b32_e64 v24, 0, v24, s[6:7]
	v_add_u16_e32 v26, v24, v29
	v_add_u16_sdwa v27, v24, v32 dst_sel:DWORD dst_unused:UNUSED_PAD src0_sel:BYTE_3 src1_sel:DWORD
	v_add_u16_sdwa v29, v24, v31 dst_sel:DWORD dst_unused:UNUSED_PAD src0_sel:WORD_1 src1_sel:DWORD
	v_add_u16_sdwa v24, v24, v30 dst_sel:DWORD dst_unused:UNUSED_PAD src0_sel:BYTE_1 src1_sel:DWORD
	v_max_i16_sdwa v26, sext(v26), v34 dst_sel:DWORD dst_unused:UNUSED_PAD src0_sel:BYTE_0 src1_sel:DWORD
	v_max_i16_sdwa v24, sext(v24), v34 dst_sel:DWORD dst_unused:UNUSED_PAD src0_sel:BYTE_0 src1_sel:DWORD
	;; [unrolled: 1-line block ×4, first 2 shown]
	buffer_store_dword v26, off, s[0:3], 0 offset:288
	buffer_store_dword v27, off, s[0:3], 0 offset:300
	;; [unrolled: 1-line block ×4, first 2 shown]
	buffer_load_dword v26, v25, s[40:43], 0 offen
	v_add_u32_e32 v24, 0x41, v35
	v_cmp_gt_i32_e64 s[6:7], s33, v24
	s_and_b64 s[8:9], s[6:7], s[4:5]
	v_add_u32_e32 v25, s10, v25
	s_and_b64 s[6:7], s[6:7], vcc
	s_waitcnt vmcnt(0)
	v_cndmask_b32_e64 v26, 0, v26, s[8:9]
	v_add_u16_e32 v13, v26, v13
	v_add_u16_sdwa v20, v26, v20 dst_sel:DWORD dst_unused:UNUSED_PAD src0_sel:BYTE_3 src1_sel:DWORD
	v_add_u16_sdwa v18, v26, v18 dst_sel:DWORD dst_unused:UNUSED_PAD src0_sel:WORD_1 src1_sel:DWORD
	v_add_u16_sdwa v12, v26, v12 dst_sel:DWORD dst_unused:UNUSED_PAD src0_sel:BYTE_1 src1_sel:DWORD
	v_max_i16_sdwa v13, sext(v13), v34 dst_sel:DWORD dst_unused:UNUSED_PAD src0_sel:BYTE_0 src1_sel:DWORD
	v_max_i16_sdwa v12, sext(v12), v34 dst_sel:DWORD dst_unused:UNUSED_PAD src0_sel:BYTE_0 src1_sel:DWORD
	;; [unrolled: 1-line block ×4, first 2 shown]
	buffer_store_dword v13, off, s[0:3], 0 offset:304
	buffer_store_dword v20, off, s[0:3], 0 offset:316
	;; [unrolled: 1-line block ×4, first 2 shown]
	buffer_load_dword v12, v25, s[40:43], 0 offen
	v_add_u32_e32 v13, s11, v25
	s_waitcnt vmcnt(0)
	v_cndmask_b32_e64 v12, 0, v12, s[6:7]
	v_add_u16_e32 v18, v12, v21
	v_add_u16_sdwa v20, v12, v28 dst_sel:DWORD dst_unused:UNUSED_PAD src0_sel:BYTE_3 src1_sel:DWORD
	v_add_u16_sdwa v21, v12, v23 dst_sel:DWORD dst_unused:UNUSED_PAD src0_sel:WORD_1 src1_sel:DWORD
	v_add_u16_sdwa v12, v12, v22 dst_sel:DWORD dst_unused:UNUSED_PAD src0_sel:BYTE_1 src1_sel:DWORD
	v_max_i16_sdwa v18, sext(v18), v34 dst_sel:DWORD dst_unused:UNUSED_PAD src0_sel:BYTE_0 src1_sel:DWORD
	v_max_i16_sdwa v12, sext(v12), v34 dst_sel:DWORD dst_unused:UNUSED_PAD src0_sel:BYTE_0 src1_sel:DWORD
	v_max_i16_sdwa v21, sext(v21), v34 dst_sel:DWORD dst_unused:UNUSED_PAD src0_sel:BYTE_0 src1_sel:DWORD
	v_max_i16_sdwa v20, sext(v20), v34 dst_sel:DWORD dst_unused:UNUSED_PAD src0_sel:BYTE_0 src1_sel:DWORD
	buffer_store_dword v18, off, s[0:3], 0 offset:320
	buffer_store_dword v20, off, s[0:3], 0 offset:332
	;; [unrolled: 1-line block ×4, first 2 shown]
	buffer_load_dword v12, v13, s[40:43], 0 offen
	v_add_u32_e32 v18, 0x42, v35
	v_cmp_gt_i32_e64 s[6:7], s33, v18
	s_and_b64 s[8:9], s[6:7], s[4:5]
	v_add_u32_e32 v13, s10, v13
	s_and_b64 s[6:7], s[6:7], vcc
	s_waitcnt vmcnt(0)
	v_cndmask_b32_e64 v12, 0, v12, s[8:9]
	v_add_u16_e32 v8, v12, v8
	v_add_u16_sdwa v11, v12, v11 dst_sel:DWORD dst_unused:UNUSED_PAD src0_sel:BYTE_3 src1_sel:DWORD
	v_add_u16_sdwa v10, v12, v10 dst_sel:DWORD dst_unused:UNUSED_PAD src0_sel:WORD_1 src1_sel:DWORD
	v_add_u16_sdwa v9, v12, v9 dst_sel:DWORD dst_unused:UNUSED_PAD src0_sel:BYTE_1 src1_sel:DWORD
	v_max_i16_sdwa v8, sext(v8), v34 dst_sel:DWORD dst_unused:UNUSED_PAD src0_sel:BYTE_0 src1_sel:DWORD
	v_max_i16_sdwa v9, sext(v9), v34 dst_sel:DWORD dst_unused:UNUSED_PAD src0_sel:BYTE_0 src1_sel:DWORD
	;; [unrolled: 1-line block ×4, first 2 shown]
	buffer_store_dword v8, off, s[0:3], 0 offset:336
	buffer_store_dword v11, off, s[0:3], 0 offset:348
	;; [unrolled: 1-line block ×4, first 2 shown]
	buffer_load_dword v8, v13, s[40:43], 0 offen
	v_add_u32_e32 v9, s11, v13
	v_cmp_gt_i32_e64 s[8:9], s20, v35
	s_waitcnt vmcnt(0)
	v_cndmask_b32_e64 v8, 0, v8, s[6:7]
	v_add_u16_e32 v10, v8, v14
	v_add_u16_sdwa v11, v8, v17 dst_sel:DWORD dst_unused:UNUSED_PAD src0_sel:BYTE_3 src1_sel:DWORD
	v_add_u16_sdwa v12, v8, v16 dst_sel:DWORD dst_unused:UNUSED_PAD src0_sel:WORD_1 src1_sel:DWORD
	v_add_u16_sdwa v8, v8, v15 dst_sel:DWORD dst_unused:UNUSED_PAD src0_sel:BYTE_1 src1_sel:DWORD
	v_max_i16_sdwa v10, sext(v10), v34 dst_sel:DWORD dst_unused:UNUSED_PAD src0_sel:BYTE_0 src1_sel:DWORD
	v_max_i16_sdwa v8, sext(v8), v34 dst_sel:DWORD dst_unused:UNUSED_PAD src0_sel:BYTE_0 src1_sel:DWORD
	;; [unrolled: 1-line block ×4, first 2 shown]
	buffer_store_dword v10, off, s[0:3], 0 offset:352
	buffer_store_dword v11, off, s[0:3], 0 offset:364
	;; [unrolled: 1-line block ×4, first 2 shown]
	buffer_load_dword v8, v9, s[40:43], 0 offen
	v_add_u32_e32 v10, 0x43, v35
	v_cmp_gt_i32_e64 s[6:7], s33, v10
	s_and_b64 s[4:5], s[6:7], s[4:5]
	v_add_u32_e32 v9, s10, v9
	s_and_b64 vcc, s[6:7], vcc
	s_waitcnt vmcnt(0)
	v_cndmask_b32_e64 v8, 0, v8, s[4:5]
	v_add_u16_e32 v0, v8, v0
	v_add_u16_sdwa v3, v8, v3 dst_sel:DWORD dst_unused:UNUSED_PAD src0_sel:BYTE_3 src1_sel:DWORD
	v_add_u16_sdwa v2, v8, v2 dst_sel:DWORD dst_unused:UNUSED_PAD src0_sel:WORD_1 src1_sel:DWORD
	v_add_u16_sdwa v1, v8, v1 dst_sel:DWORD dst_unused:UNUSED_PAD src0_sel:BYTE_1 src1_sel:DWORD
	v_max_i16_sdwa v0, sext(v0), v34 dst_sel:DWORD dst_unused:UNUSED_PAD src0_sel:BYTE_0 src1_sel:DWORD
	v_max_i16_sdwa v1, sext(v1), v34 dst_sel:DWORD dst_unused:UNUSED_PAD src0_sel:BYTE_0 src1_sel:DWORD
	v_max_i16_sdwa v2, sext(v2), v34 dst_sel:DWORD dst_unused:UNUSED_PAD src0_sel:BYTE_0 src1_sel:DWORD
	v_max_i16_sdwa v3, sext(v3), v34 dst_sel:DWORD dst_unused:UNUSED_PAD src0_sel:BYTE_0 src1_sel:DWORD
	buffer_store_dword v0, off, s[0:3], 0 offset:368
	buffer_store_dword v3, off, s[0:3], 0 offset:380
	;; [unrolled: 1-line block ×4, first 2 shown]
	buffer_load_dword v2, v9, s[40:43], 0 offen
	v_mul_lo_u32 v0, v35, s16
	v_cmp_gt_i32_e64 s[4:5], s21, v33
	v_mad_u64_u32 v[0:1], s[10:11], v33, s17, v[0:1]
	v_bfrev_b32_e32 v3, 1
	s_and_b64 s[10:11], s[8:9], s[4:5]
	v_lshlrev_b16_e32 v8, 8, v39
	v_lshlrev_b16_e32 v9, 8, v37
	v_cndmask_b32_e64 v1, v3, 0, s[10:11]
	v_or_b32_e32 v8, v40, v8
	v_or_b32_sdwa v9, v38, v9 dst_sel:WORD_1 dst_unused:UNUSED_PAD src0_sel:DWORD src1_sel:DWORD
	v_add_u32_e32 v1, v1, v0
	v_or_b32_sdwa v8, v8, v9 dst_sel:DWORD dst_unused:UNUSED_PAD src0_sel:WORD_0 src1_sel:DWORD
	s_lshl_b32 s11, s17, 6
	s_mov_b32 s10, 0xc0c0500
	s_waitcnt vmcnt(0)
	v_cndmask_b32_e32 v2, 0, v2, vcc
	v_add_u16_e32 v4, v2, v4
	v_add_u16_sdwa v7, v2, v7 dst_sel:DWORD dst_unused:UNUSED_PAD src0_sel:BYTE_3 src1_sel:DWORD
	v_add_u16_sdwa v6, v2, v6 dst_sel:DWORD dst_unused:UNUSED_PAD src0_sel:WORD_1 src1_sel:DWORD
	v_add_u16_sdwa v2, v2, v5 dst_sel:DWORD dst_unused:UNUSED_PAD src0_sel:BYTE_1 src1_sel:DWORD
	v_max_i16_sdwa v4, sext(v4), v34 dst_sel:DWORD dst_unused:UNUSED_PAD src0_sel:BYTE_0 src1_sel:DWORD
	v_max_i16_sdwa v2, sext(v2), v34 dst_sel:DWORD dst_unused:UNUSED_PAD src0_sel:BYTE_0 src1_sel:DWORD
	;; [unrolled: 1-line block ×4, first 2 shown]
	buffer_store_dword v4, off, s[0:3], 0 offset:384
	buffer_store_dword v6, off, s[0:3], 0 offset:396
	;; [unrolled: 1-line block ×4, first 2 shown]
	buffer_store_dword v8, v1, s[12:15], 0 offen
	buffer_load_dword v1, off, s[0:3], 0 offset:164
	s_nop 0
	buffer_load_dword v2, off, s[0:3], 0 offset:168
	buffer_load_dword v4, off, s[0:3], 0 offset:172
	buffer_load_dword v5, off, s[0:3], 0 offset:160
	v_cmp_gt_i32_e32 vcc, s21, v41
	s_and_b64 s[6:7], s[8:9], vcc
	v_add_u32_e32 v6, s11, v0
	v_cndmask_b32_e64 v7, v3, 0, s[6:7]
	v_add_u32_e32 v7, v7, v6
	v_cmp_gt_i32_e64 s[6:7], s20, v42
	s_and_b64 s[8:9], s[6:7], vcc
	v_add_u32_e32 v6, s16, v6
	s_and_b64 s[6:7], s[6:7], s[4:5]
	v_add_u32_e32 v0, s16, v0
	s_waitcnt vmcnt(3)
	v_lshlrev_b32_e32 v1, 8, v1
	s_waitcnt vmcnt(2)
	v_lshlrev_b32_e32 v2, 16, v2
	;; [unrolled: 2-line block ×3, first 2 shown]
	v_and_b32_e32 v2, 0xff0000, v2
	s_waitcnt vmcnt(0)
	v_perm_b32 v1, v1, v5, s10
	v_or3_b32 v1, v1, v2, v4
	buffer_store_dword v1, v7, s[12:15], 0 offen
	buffer_load_dword v1, off, s[0:3], 0 offset:196
	s_nop 0
	buffer_load_dword v2, off, s[0:3], 0 offset:200
	buffer_load_dword v4, off, s[0:3], 0 offset:204
	;; [unrolled: 1-line block ×3, first 2 shown]
	v_cndmask_b32_e64 v7, v3, 0, s[8:9]
	v_add_u32_e32 v7, v7, v6
	v_add_u32_e32 v6, s16, v6
	s_waitcnt vmcnt(3)
	v_lshlrev_b32_e32 v1, 8, v1
	s_waitcnt vmcnt(2)
	v_lshlrev_b32_e32 v2, 16, v2
	;; [unrolled: 2-line block ×3, first 2 shown]
	v_and_b32_e32 v2, 0xff0000, v2
	s_waitcnt vmcnt(0)
	v_perm_b32 v1, v1, v5, s10
	v_or3_b32 v1, v1, v2, v4
	buffer_store_dword v1, v7, s[12:15], 0 offen
	buffer_load_dword v1, off, s[0:3], 0 offset:180
	s_nop 0
	buffer_load_dword v2, off, s[0:3], 0 offset:184
	buffer_load_dword v4, off, s[0:3], 0 offset:188
	buffer_load_dword v5, off, s[0:3], 0 offset:176
	v_cndmask_b32_e64 v7, v3, 0, s[6:7]
	v_add_u32_e32 v7, v0, v7
	v_cmp_gt_i32_e64 s[6:7], s20, v43
	s_and_b64 s[8:9], s[6:7], s[4:5]
	s_and_b64 s[6:7], s[6:7], vcc
	s_waitcnt vmcnt(3)
	v_lshlrev_b32_e32 v1, 8, v1
	s_waitcnt vmcnt(2)
	v_lshlrev_b32_e32 v2, 16, v2
	;; [unrolled: 2-line block ×3, first 2 shown]
	v_and_b32_e32 v2, 0xff0000, v2
	s_waitcnt vmcnt(0)
	v_perm_b32 v1, v1, v5, s10
	v_or3_b32 v1, v1, v2, v4
	buffer_store_dword v1, v7, s[12:15], 0 offen
	buffer_load_dword v1, off, s[0:3], 0 offset:212
	s_nop 0
	buffer_load_dword v2, off, s[0:3], 0 offset:216
	buffer_load_dword v4, off, s[0:3], 0 offset:220
	;; [unrolled: 1-line block ×3, first 2 shown]
	v_cndmask_b32_e64 v7, v3, 0, s[8:9]
	v_add3_u32 v0, v7, s16, v0
	s_waitcnt vmcnt(3)
	v_lshlrev_b32_e32 v1, 8, v1
	s_waitcnt vmcnt(2)
	v_lshlrev_b32_e32 v2, 16, v2
	;; [unrolled: 2-line block ×3, first 2 shown]
	v_and_b32_e32 v2, 0xff0000, v2
	s_waitcnt vmcnt(0)
	v_perm_b32 v1, v1, v5, s10
	v_or3_b32 v1, v1, v2, v4
	buffer_store_dword v1, v0, s[12:15], 0 offen
	buffer_load_dword v0, off, s[0:3], 0 offset:228
	s_nop 0
	buffer_load_dword v1, off, s[0:3], 0 offset:232
	buffer_load_dword v2, off, s[0:3], 0 offset:236
	;; [unrolled: 1-line block ×3, first 2 shown]
	v_cndmask_b32_e64 v5, v3, 0, s[6:7]
	v_add_u32_e32 v5, v6, v5
	v_cmp_gt_i32_e64 s[6:7], s20, v44
	s_and_b64 s[8:9], s[6:7], vcc
	v_add_u32_e32 v6, s16, v6
	s_and_b64 s[6:7], s[6:7], s[4:5]
	s_waitcnt vmcnt(3)
	v_lshlrev_b32_e32 v0, 8, v0
	s_waitcnt vmcnt(2)
	v_lshlrev_b32_e32 v1, 16, v1
	;; [unrolled: 2-line block ×3, first 2 shown]
	v_and_b32_e32 v1, 0xff0000, v1
	s_waitcnt vmcnt(0)
	v_perm_b32 v0, v0, v4, s10
	v_or3_b32 v0, v0, v1, v2
	buffer_store_dword v0, v5, s[12:15], 0 offen
	buffer_load_dword v0, off, s[0:3], 0 offset:260
	s_nop 0
	buffer_load_dword v1, off, s[0:3], 0 offset:264
	buffer_load_dword v2, off, s[0:3], 0 offset:268
	;; [unrolled: 1-line block ×3, first 2 shown]
	v_cndmask_b32_e64 v5, v3, 0, s[8:9]
	v_add_u32_e32 v5, v6, v5
	v_subrev_u32_e32 v6, s11, v6
	s_waitcnt vmcnt(3)
	v_lshlrev_b32_e32 v0, 8, v0
	s_waitcnt vmcnt(2)
	v_lshlrev_b32_e32 v1, 16, v1
	;; [unrolled: 2-line block ×3, first 2 shown]
	v_and_b32_e32 v1, 0xff0000, v1
	s_waitcnt vmcnt(0)
	v_perm_b32 v0, v0, v4, s10
	v_or3_b32 v0, v0, v1, v2
	buffer_store_dword v0, v5, s[12:15], 0 offen
	buffer_load_dword v0, off, s[0:3], 0 offset:244
	s_nop 0
	buffer_load_dword v1, off, s[0:3], 0 offset:248
	buffer_load_dword v2, off, s[0:3], 0 offset:252
	;; [unrolled: 1-line block ×3, first 2 shown]
	v_cndmask_b32_e64 v5, v3, 0, s[6:7]
	v_add_u32_e32 v5, v6, v5
	v_cmp_gt_i32_e64 s[6:7], s20, v10
	s_and_b64 s[8:9], s[6:7], s[4:5]
	s_and_b64 s[6:7], s[6:7], vcc
	s_waitcnt vmcnt(3)
	v_lshlrev_b32_e32 v0, 8, v0
	s_waitcnt vmcnt(2)
	v_lshlrev_b32_e32 v1, 16, v1
	;; [unrolled: 2-line block ×3, first 2 shown]
	v_and_b32_e32 v1, 0xff0000, v1
	s_waitcnt vmcnt(0)
	v_perm_b32 v0, v0, v4, s10
	v_or3_b32 v0, v0, v1, v2
	buffer_store_dword v0, v5, s[12:15], 0 offen
	buffer_load_dword v0, off, s[0:3], 0 offset:372
	s_nop 0
	buffer_load_dword v1, off, s[0:3], 0 offset:376
	buffer_load_dword v2, off, s[0:3], 0 offset:380
	;; [unrolled: 1-line block ×3, first 2 shown]
	v_cndmask_b32_e64 v5, v3, 0, s[8:9]
	v_add3_u32 v5, v5, s18, v6
	s_add_i32 s8, s17, s16
	v_lshl_add_u32 v6, s8, 6, v6
	s_waitcnt vmcnt(3)
	v_lshlrev_b32_e32 v0, 8, v0
	s_waitcnt vmcnt(2)
	v_lshlrev_b32_e32 v1, 16, v1
	;; [unrolled: 2-line block ×3, first 2 shown]
	v_and_b32_e32 v1, 0xff0000, v1
	s_waitcnt vmcnt(0)
	v_perm_b32 v0, v0, v4, s10
	v_or3_b32 v0, v0, v1, v2
	buffer_store_dword v0, v5, s[12:15], 0 offen
	buffer_load_dword v0, off, s[0:3], 0 offset:388
	s_nop 0
	buffer_load_dword v1, off, s[0:3], 0 offset:392
	buffer_load_dword v2, off, s[0:3], 0 offset:396
	;; [unrolled: 1-line block ×3, first 2 shown]
	v_cndmask_b32_e64 v5, v3, 0, s[6:7]
	v_add_u32_e32 v5, v6, v5
	v_cmp_ge_i32_e64 s[6:7], s20, v10
	s_and_b64 s[6:7], s[6:7], vcc
	v_subrev_u32_e32 v6, s16, v6
	s_waitcnt vmcnt(3)
	v_lshlrev_b32_e32 v0, 8, v0
	s_waitcnt vmcnt(2)
	v_lshlrev_b32_e32 v1, 16, v1
	;; [unrolled: 2-line block ×3, first 2 shown]
	v_and_b32_e32 v1, 0xff0000, v1
	s_waitcnt vmcnt(0)
	v_perm_b32 v0, v0, v4, s10
	v_or3_b32 v0, v0, v1, v2
	buffer_store_dword v0, v5, s[12:15], 0 offen
	buffer_load_dword v0, off, s[0:3], 0 offset:356
	s_nop 0
	buffer_load_dword v1, off, s[0:3], 0 offset:360
	buffer_load_dword v2, off, s[0:3], 0 offset:364
	;; [unrolled: 1-line block ×3, first 2 shown]
	v_cndmask_b32_e64 v5, v3, 0, s[6:7]
	v_add_u32_e32 v5, v6, v5
	v_cmp_gt_i32_e64 s[6:7], s20, v18
	s_and_b64 s[6:7], s[6:7], s[4:5]
	v_subrev_u32_e32 v6, s11, v6
	s_waitcnt vmcnt(3)
	v_lshlrev_b32_e32 v0, 8, v0
	s_waitcnt vmcnt(2)
	v_lshlrev_b32_e32 v1, 16, v1
	;; [unrolled: 2-line block ×3, first 2 shown]
	v_and_b32_e32 v1, 0xff0000, v1
	s_waitcnt vmcnt(0)
	v_perm_b32 v0, v0, v4, s10
	v_or3_b32 v0, v0, v1, v2
	buffer_store_dword v0, v5, s[12:15], 0 offen
	buffer_load_dword v0, off, s[0:3], 0 offset:340
	s_nop 0
	buffer_load_dword v1, off, s[0:3], 0 offset:344
	buffer_load_dword v2, off, s[0:3], 0 offset:348
	;; [unrolled: 1-line block ×3, first 2 shown]
	v_cndmask_b32_e64 v5, v3, 0, s[6:7]
	v_add_u32_e32 v5, v6, v5
	v_cmp_ge_i32_e64 s[6:7], s20, v18
	s_and_b64 s[6:7], s[6:7], s[4:5]
	v_subrev_u32_e32 v6, s16, v6
	s_waitcnt vmcnt(3)
	v_lshlrev_b32_e32 v0, 8, v0
	s_waitcnt vmcnt(2)
	v_lshlrev_b32_e32 v1, 16, v1
	s_waitcnt vmcnt(1)
	v_lshlrev_b32_e32 v2, 24, v2
	v_and_b32_e32 v1, 0xff0000, v1
	s_waitcnt vmcnt(0)
	v_perm_b32 v0, v0, v4, s10
	v_or3_b32 v0, v0, v1, v2
	buffer_store_dword v0, v5, s[12:15], 0 offen
	buffer_load_dword v0, off, s[0:3], 0 offset:308
	s_nop 0
	buffer_load_dword v1, off, s[0:3], 0 offset:312
	buffer_load_dword v2, off, s[0:3], 0 offset:316
	;; [unrolled: 1-line block ×3, first 2 shown]
	v_cndmask_b32_e64 v5, v3, 0, s[6:7]
	v_add_u32_e32 v5, v6, v5
	v_cmp_gt_i32_e64 s[6:7], s20, v24
	s_and_b64 s[6:7], s[6:7], vcc
	v_add_u32_e32 v6, s11, v6
	s_waitcnt vmcnt(3)
	v_lshlrev_b32_e32 v0, 8, v0
	s_waitcnt vmcnt(2)
	v_lshlrev_b32_e32 v1, 16, v1
	;; [unrolled: 2-line block ×3, first 2 shown]
	v_and_b32_e32 v1, 0xff0000, v1
	s_waitcnt vmcnt(0)
	v_perm_b32 v0, v0, v4, s10
	v_or3_b32 v0, v0, v1, v2
	buffer_store_dword v0, v5, s[12:15], 0 offen
	buffer_load_dword v0, off, s[0:3], 0 offset:324
	s_nop 0
	buffer_load_dword v1, off, s[0:3], 0 offset:328
	buffer_load_dword v2, off, s[0:3], 0 offset:332
	;; [unrolled: 1-line block ×3, first 2 shown]
	v_cndmask_b32_e64 v5, v3, 0, s[6:7]
	v_add_u32_e32 v5, v6, v5
	v_cmp_ge_i32_e64 s[6:7], s20, v24
	s_and_b64 s[6:7], s[6:7], vcc
	v_subrev_u32_e32 v6, s16, v6
	v_cmp_gt_i32_e32 vcc, s20, v19
	s_and_b64 s[4:5], vcc, s[4:5]
	s_waitcnt vmcnt(3)
	v_lshlrev_b32_e32 v0, 8, v0
	s_waitcnt vmcnt(2)
	v_lshlrev_b32_e32 v1, 16, v1
	;; [unrolled: 2-line block ×3, first 2 shown]
	v_and_b32_e32 v1, 0xff0000, v1
	s_waitcnt vmcnt(0)
	v_perm_b32 v0, v0, v4, s10
	v_or3_b32 v0, v0, v1, v2
	buffer_store_dword v0, v5, s[12:15], 0 offen
	buffer_load_dword v0, off, s[0:3], 0 offset:292
	s_nop 0
	buffer_load_dword v1, off, s[0:3], 0 offset:296
	buffer_load_dword v2, off, s[0:3], 0 offset:300
	buffer_load_dword v4, off, s[0:3], 0 offset:288
	v_cndmask_b32_e64 v5, v3, 0, s[6:7]
	v_add_u32_e32 v5, v6, v5
	v_cndmask_b32_e64 v3, v3, 0, s[4:5]
	v_subrev_u32_e32 v3, s11, v3
	s_waitcnt vmcnt(3)
	v_lshlrev_b32_e32 v0, 8, v0
	s_waitcnt vmcnt(2)
	v_lshlrev_b32_e32 v1, 16, v1
	s_waitcnt vmcnt(1)
	v_lshlrev_b32_e32 v2, 24, v2
	v_and_b32_e32 v1, 0xff0000, v1
	s_waitcnt vmcnt(0)
	v_perm_b32 v0, v0, v4, s10
	v_or3_b32 v0, v0, v1, v2
	buffer_store_dword v0, v5, s[12:15], 0 offen
	buffer_load_dword v0, off, s[0:3], 0 offset:276
	s_nop 0
	buffer_load_dword v1, off, s[0:3], 0 offset:280
	buffer_load_dword v2, off, s[0:3], 0 offset:284
	;; [unrolled: 1-line block ×3, first 2 shown]
	s_waitcnt vmcnt(3)
	v_lshlrev_b32_e32 v0, 8, v0
	s_waitcnt vmcnt(2)
	v_lshlrev_b32_e32 v1, 16, v1
	;; [unrolled: 2-line block ×3, first 2 shown]
	v_and_b32_e32 v1, 0xff0000, v1
	s_waitcnt vmcnt(0)
	v_perm_b32 v0, v0, v4, s10
	v_or3_b32 v0, v0, v1, v2
	v_add_u32_e32 v1, v3, v6
	buffer_store_dword v0, v1, s[12:15], 0 offen
	s_endpgm
	.section	.rodata,"a",@progbits
	.p2align	6, 0x0
	.amdhsa_kernel _ZN2ck16tensor_operation6device12_GLOBAL__N_137kernel_grouped_conv_fwd_dl_multiple_dINS_32GridwiseGemmDlMultipleD_km_kn_mnILi256EaiNS_5TupleIJaEEEaNS0_12element_wise11PassThroughES8_NS7_7AddReluELNS_25InMemoryDataOperationEnumE0ENS_16TensorDescriptorINS5_IJNS_5EmbedINS5_IJiiiiEEESD_Lb0EEENS_11PassThroughIiEENS_3PadIiiiLb0EEESI_SG_SG_NSC_INS5_IJiiEEESJ_Lb0EEESK_SG_NS_23Merge_v2_magic_divisionINS5_IJiiiEEEEESN_NS_8RightPadIiiLb0EEESP_NS_7UnMergeISJ_Lb0EEESG_EEENS5_IJNS_8SequenceIJLi0EEEENST_IJLi1EEEENST_IJLi2EEEENST_IJLi3EEEENST_IJLi4EEEENST_IJLi5EEEENST_IJLi6EEEENST_IJLi7EEEENST_IJLi8EEEENST_IJLi9ELi11ELi13EEEENST_IJLi10ELi12ELi14EEEENST_IJLi15EEEENST_IJLi16EEEENST_IJLi18EEEENST_IJLi17EEEEEEENS5_IJNST_IJLi1ELi2ELi3ELi4EEEESZ_S10_S11_S12_NST_IJLi9EEEENST_IJLi10ELi11EEEENST_IJLi12ELi13EEEENST_IJLi14EEEES15_S16_S18_S17_NST_IJLi19ELi20EEEENST_IJLi21EEEEEEENST_IJLi19ELi21ELi20EEEElEENSB_INS5_IJSR_SP_SP_SR_SG_EEENS5_IJSU_SV_SW_SY_SX_EEENS5_IJNST_IJLi1ELi2EEEESX_SY_NST_IJLi5ELi6EEEES11_EEENST_IJLi5ELi7ELi6EEEElEENSB_INS5_IJSK_SP_SP_EEENS5_IJSU_SV_SW_EEENS5_IJS1M_SX_SY_EEENST_IJLi3ELi4EEEElEELi128ELi128ELi16ELi4ELi4ELi4ELi1ENST_IJLi8ELi2EEEES1W_NST_IJLi8ELi1ELi1ELi4EEEENST_IJLi2ELi1ELi128ELi1EEEENST_IJLi1ELi2ELi0ELi3EEEES1Z_NST_IJLi4ELi1ELi1ELi4EEEES1Z_NST_IJLi1ELi1ELi1ELi4EEEES1X_S1Y_S1Z_S1Z_S20_S1Z_S21_NST_IJLi0ELi1ELi2ELi3ELi4ELi5EEEELi5ELi4EEEaNS5_IJPKaEEEaS8_S8_S9_NSB_INS5_IJSE_SG_SI_SI_SG_SG_SK_SK_SG_SN_SN_SP_SP_SR_SG_SG_NSQ_INS5_IJiNS_17integral_constantIiLi128EEEEEELb0EEENSF_INS27_IiLi4EEEEEEEENS5_IJSU_SV_SW_SX_SY_SZ_S10_S11_S12_S13_S14_S15_S16_S17_S18_NST_IJLi19EEEES1G_NST_IJLi20EEEEEEENS5_IJS1A_SZ_S10_S11_S12_S1B_S1C_S1D_S1E_S15_S16_S18_S17_S1F_S1G_NST_IJLi22EEEENST_IJLi23ELi24EEEENST_IJLi25EEEEEEENST_IJLi22ELi23ELi24ELi25EEEElEENSB_INS5_IJSR_SP_SP_SR_SG_SG_S2A_S2C_EEENS5_IJSU_SV_SW_SY_SX_SZ_S11_S10_EEENS5_IJS1M_SX_SY_S1N_S11_S12_NST_IJLi9ELi10EEEENST_IJLi11EEEEEEENST_IJLi8ELi9ELi10ELi11EEEElEENS5_IJNSB_INS5_IJSK_SP_SP_NSQ_INS5_IJiNS27_IiLi2EEENS27_IiLi64EEEEEELb0EEES2X_EEENS5_IJSU_SV_SW_SX_SY_EEENS5_IJS1M_SX_SY_NST_IJLi5ELi6ELi7EEEENST_IJLi8ELi9ELi10EEEEEEENST_IJLi5ELi6ELi7ELi8ELi9ELi10EEEElEEEEES34_NS_31BlockToCTileMap_M00_N00_M01_N01ILi128ELi128ES1V_Lb0EEENS1_30ComputePtrOffsetOfStridedBatchILi1ELi1ELi1EvEELb0ELb1EEEvPKT0_S3C_T1_PT2_T3_T4_T5_iT6_T7_T8_T9_T10_T11_
		.amdhsa_group_segment_fixed_size 32768
		.amdhsa_private_segment_fixed_size 480
		.amdhsa_kernarg_size 968
		.amdhsa_user_sgpr_count 8
		.amdhsa_user_sgpr_private_segment_buffer 1
		.amdhsa_user_sgpr_dispatch_ptr 0
		.amdhsa_user_sgpr_queue_ptr 0
		.amdhsa_user_sgpr_kernarg_segment_ptr 1
		.amdhsa_user_sgpr_dispatch_id 0
		.amdhsa_user_sgpr_flat_scratch_init 1
		.amdhsa_user_sgpr_kernarg_preload_length 0
		.amdhsa_user_sgpr_kernarg_preload_offset 0
		.amdhsa_user_sgpr_private_segment_size 0
		.amdhsa_uses_dynamic_stack 0
		.amdhsa_system_sgpr_private_segment_wavefront_offset 1
		.amdhsa_system_sgpr_workgroup_id_x 1
		.amdhsa_system_sgpr_workgroup_id_y 0
		.amdhsa_system_sgpr_workgroup_id_z 0
		.amdhsa_system_sgpr_workgroup_info 0
		.amdhsa_system_vgpr_workitem_id 0
		.amdhsa_next_free_vgpr 74
		.amdhsa_next_free_sgpr 82
		.amdhsa_accum_offset 76
		.amdhsa_reserve_vcc 1
		.amdhsa_reserve_flat_scratch 1
		.amdhsa_float_round_mode_32 0
		.amdhsa_float_round_mode_16_64 0
		.amdhsa_float_denorm_mode_32 3
		.amdhsa_float_denorm_mode_16_64 3
		.amdhsa_dx10_clamp 1
		.amdhsa_ieee_mode 1
		.amdhsa_fp16_overflow 0
		.amdhsa_tg_split 0
		.amdhsa_exception_fp_ieee_invalid_op 0
		.amdhsa_exception_fp_denorm_src 0
		.amdhsa_exception_fp_ieee_div_zero 0
		.amdhsa_exception_fp_ieee_overflow 0
		.amdhsa_exception_fp_ieee_underflow 0
		.amdhsa_exception_fp_ieee_inexact 0
		.amdhsa_exception_int_div_zero 0
	.end_amdhsa_kernel
	.section	.text._ZN2ck16tensor_operation6device12_GLOBAL__N_137kernel_grouped_conv_fwd_dl_multiple_dINS_32GridwiseGemmDlMultipleD_km_kn_mnILi256EaiNS_5TupleIJaEEEaNS0_12element_wise11PassThroughES8_NS7_7AddReluELNS_25InMemoryDataOperationEnumE0ENS_16TensorDescriptorINS5_IJNS_5EmbedINS5_IJiiiiEEESD_Lb0EEENS_11PassThroughIiEENS_3PadIiiiLb0EEESI_SG_SG_NSC_INS5_IJiiEEESJ_Lb0EEESK_SG_NS_23Merge_v2_magic_divisionINS5_IJiiiEEEEESN_NS_8RightPadIiiLb0EEESP_NS_7UnMergeISJ_Lb0EEESG_EEENS5_IJNS_8SequenceIJLi0EEEENST_IJLi1EEEENST_IJLi2EEEENST_IJLi3EEEENST_IJLi4EEEENST_IJLi5EEEENST_IJLi6EEEENST_IJLi7EEEENST_IJLi8EEEENST_IJLi9ELi11ELi13EEEENST_IJLi10ELi12ELi14EEEENST_IJLi15EEEENST_IJLi16EEEENST_IJLi18EEEENST_IJLi17EEEEEEENS5_IJNST_IJLi1ELi2ELi3ELi4EEEESZ_S10_S11_S12_NST_IJLi9EEEENST_IJLi10ELi11EEEENST_IJLi12ELi13EEEENST_IJLi14EEEES15_S16_S18_S17_NST_IJLi19ELi20EEEENST_IJLi21EEEEEEENST_IJLi19ELi21ELi20EEEElEENSB_INS5_IJSR_SP_SP_SR_SG_EEENS5_IJSU_SV_SW_SY_SX_EEENS5_IJNST_IJLi1ELi2EEEESX_SY_NST_IJLi5ELi6EEEES11_EEENST_IJLi5ELi7ELi6EEEElEENSB_INS5_IJSK_SP_SP_EEENS5_IJSU_SV_SW_EEENS5_IJS1M_SX_SY_EEENST_IJLi3ELi4EEEElEELi128ELi128ELi16ELi4ELi4ELi4ELi1ENST_IJLi8ELi2EEEES1W_NST_IJLi8ELi1ELi1ELi4EEEENST_IJLi2ELi1ELi128ELi1EEEENST_IJLi1ELi2ELi0ELi3EEEES1Z_NST_IJLi4ELi1ELi1ELi4EEEES1Z_NST_IJLi1ELi1ELi1ELi4EEEES1X_S1Y_S1Z_S1Z_S20_S1Z_S21_NST_IJLi0ELi1ELi2ELi3ELi4ELi5EEEELi5ELi4EEEaNS5_IJPKaEEEaS8_S8_S9_NSB_INS5_IJSE_SG_SI_SI_SG_SG_SK_SK_SG_SN_SN_SP_SP_SR_SG_SG_NSQ_INS5_IJiNS_17integral_constantIiLi128EEEEEELb0EEENSF_INS27_IiLi4EEEEEEEENS5_IJSU_SV_SW_SX_SY_SZ_S10_S11_S12_S13_S14_S15_S16_S17_S18_NST_IJLi19EEEES1G_NST_IJLi20EEEEEEENS5_IJS1A_SZ_S10_S11_S12_S1B_S1C_S1D_S1E_S15_S16_S18_S17_S1F_S1G_NST_IJLi22EEEENST_IJLi23ELi24EEEENST_IJLi25EEEEEEENST_IJLi22ELi23ELi24ELi25EEEElEENSB_INS5_IJSR_SP_SP_SR_SG_SG_S2A_S2C_EEENS5_IJSU_SV_SW_SY_SX_SZ_S11_S10_EEENS5_IJS1M_SX_SY_S1N_S11_S12_NST_IJLi9ELi10EEEENST_IJLi11EEEEEEENST_IJLi8ELi9ELi10ELi11EEEElEENS5_IJNSB_INS5_IJSK_SP_SP_NSQ_INS5_IJiNS27_IiLi2EEENS27_IiLi64EEEEEELb0EEES2X_EEENS5_IJSU_SV_SW_SX_SY_EEENS5_IJS1M_SX_SY_NST_IJLi5ELi6ELi7EEEENST_IJLi8ELi9ELi10EEEEEEENST_IJLi5ELi6ELi7ELi8ELi9ELi10EEEElEEEEES34_NS_31BlockToCTileMap_M00_N00_M01_N01ILi128ELi128ES1V_Lb0EEENS1_30ComputePtrOffsetOfStridedBatchILi1ELi1ELi1EvEELb0ELb1EEEvPKT0_S3C_T1_PT2_T3_T4_T5_iT6_T7_T8_T9_T10_T11_,"axG",@progbits,_ZN2ck16tensor_operation6device12_GLOBAL__N_137kernel_grouped_conv_fwd_dl_multiple_dINS_32GridwiseGemmDlMultipleD_km_kn_mnILi256EaiNS_5TupleIJaEEEaNS0_12element_wise11PassThroughES8_NS7_7AddReluELNS_25InMemoryDataOperationEnumE0ENS_16TensorDescriptorINS5_IJNS_5EmbedINS5_IJiiiiEEESD_Lb0EEENS_11PassThroughIiEENS_3PadIiiiLb0EEESI_SG_SG_NSC_INS5_IJiiEEESJ_Lb0EEESK_SG_NS_23Merge_v2_magic_divisionINS5_IJiiiEEEEESN_NS_8RightPadIiiLb0EEESP_NS_7UnMergeISJ_Lb0EEESG_EEENS5_IJNS_8SequenceIJLi0EEEENST_IJLi1EEEENST_IJLi2EEEENST_IJLi3EEEENST_IJLi4EEEENST_IJLi5EEEENST_IJLi6EEEENST_IJLi7EEEENST_IJLi8EEEENST_IJLi9ELi11ELi13EEEENST_IJLi10ELi12ELi14EEEENST_IJLi15EEEENST_IJLi16EEEENST_IJLi18EEEENST_IJLi17EEEEEEENS5_IJNST_IJLi1ELi2ELi3ELi4EEEESZ_S10_S11_S12_NST_IJLi9EEEENST_IJLi10ELi11EEEENST_IJLi12ELi13EEEENST_IJLi14EEEES15_S16_S18_S17_NST_IJLi19ELi20EEEENST_IJLi21EEEEEEENST_IJLi19ELi21ELi20EEEElEENSB_INS5_IJSR_SP_SP_SR_SG_EEENS5_IJSU_SV_SW_SY_SX_EEENS5_IJNST_IJLi1ELi2EEEESX_SY_NST_IJLi5ELi6EEEES11_EEENST_IJLi5ELi7ELi6EEEElEENSB_INS5_IJSK_SP_SP_EEENS5_IJSU_SV_SW_EEENS5_IJS1M_SX_SY_EEENST_IJLi3ELi4EEEElEELi128ELi128ELi16ELi4ELi4ELi4ELi1ENST_IJLi8ELi2EEEES1W_NST_IJLi8ELi1ELi1ELi4EEEENST_IJLi2ELi1ELi128ELi1EEEENST_IJLi1ELi2ELi0ELi3EEEES1Z_NST_IJLi4ELi1ELi1ELi4EEEES1Z_NST_IJLi1ELi1ELi1ELi4EEEES1X_S1Y_S1Z_S1Z_S20_S1Z_S21_NST_IJLi0ELi1ELi2ELi3ELi4ELi5EEEELi5ELi4EEEaNS5_IJPKaEEEaS8_S8_S9_NSB_INS5_IJSE_SG_SI_SI_SG_SG_SK_SK_SG_SN_SN_SP_SP_SR_SG_SG_NSQ_INS5_IJiNS_17integral_constantIiLi128EEEEEELb0EEENSF_INS27_IiLi4EEEEEEEENS5_IJSU_SV_SW_SX_SY_SZ_S10_S11_S12_S13_S14_S15_S16_S17_S18_NST_IJLi19EEEES1G_NST_IJLi20EEEEEEENS5_IJS1A_SZ_S10_S11_S12_S1B_S1C_S1D_S1E_S15_S16_S18_S17_S1F_S1G_NST_IJLi22EEEENST_IJLi23ELi24EEEENST_IJLi25EEEEEEENST_IJLi22ELi23ELi24ELi25EEEElEENSB_INS5_IJSR_SP_SP_SR_SG_SG_S2A_S2C_EEENS5_IJSU_SV_SW_SY_SX_SZ_S11_S10_EEENS5_IJS1M_SX_SY_S1N_S11_S12_NST_IJLi9ELi10EEEENST_IJLi11EEEEEEENST_IJLi8ELi9ELi10ELi11EEEElEENS5_IJNSB_INS5_IJSK_SP_SP_NSQ_INS5_IJiNS27_IiLi2EEENS27_IiLi64EEEEEELb0EEES2X_EEENS5_IJSU_SV_SW_SX_SY_EEENS5_IJS1M_SX_SY_NST_IJLi5ELi6ELi7EEEENST_IJLi8ELi9ELi10EEEEEEENST_IJLi5ELi6ELi7ELi8ELi9ELi10EEEElEEEEES34_NS_31BlockToCTileMap_M00_N00_M01_N01ILi128ELi128ES1V_Lb0EEENS1_30ComputePtrOffsetOfStridedBatchILi1ELi1ELi1EvEELb0ELb1EEEvPKT0_S3C_T1_PT2_T3_T4_T5_iT6_T7_T8_T9_T10_T11_,comdat
.Lfunc_end8:
	.size	_ZN2ck16tensor_operation6device12_GLOBAL__N_137kernel_grouped_conv_fwd_dl_multiple_dINS_32GridwiseGemmDlMultipleD_km_kn_mnILi256EaiNS_5TupleIJaEEEaNS0_12element_wise11PassThroughES8_NS7_7AddReluELNS_25InMemoryDataOperationEnumE0ENS_16TensorDescriptorINS5_IJNS_5EmbedINS5_IJiiiiEEESD_Lb0EEENS_11PassThroughIiEENS_3PadIiiiLb0EEESI_SG_SG_NSC_INS5_IJiiEEESJ_Lb0EEESK_SG_NS_23Merge_v2_magic_divisionINS5_IJiiiEEEEESN_NS_8RightPadIiiLb0EEESP_NS_7UnMergeISJ_Lb0EEESG_EEENS5_IJNS_8SequenceIJLi0EEEENST_IJLi1EEEENST_IJLi2EEEENST_IJLi3EEEENST_IJLi4EEEENST_IJLi5EEEENST_IJLi6EEEENST_IJLi7EEEENST_IJLi8EEEENST_IJLi9ELi11ELi13EEEENST_IJLi10ELi12ELi14EEEENST_IJLi15EEEENST_IJLi16EEEENST_IJLi18EEEENST_IJLi17EEEEEEENS5_IJNST_IJLi1ELi2ELi3ELi4EEEESZ_S10_S11_S12_NST_IJLi9EEEENST_IJLi10ELi11EEEENST_IJLi12ELi13EEEENST_IJLi14EEEES15_S16_S18_S17_NST_IJLi19ELi20EEEENST_IJLi21EEEEEEENST_IJLi19ELi21ELi20EEEElEENSB_INS5_IJSR_SP_SP_SR_SG_EEENS5_IJSU_SV_SW_SY_SX_EEENS5_IJNST_IJLi1ELi2EEEESX_SY_NST_IJLi5ELi6EEEES11_EEENST_IJLi5ELi7ELi6EEEElEENSB_INS5_IJSK_SP_SP_EEENS5_IJSU_SV_SW_EEENS5_IJS1M_SX_SY_EEENST_IJLi3ELi4EEEElEELi128ELi128ELi16ELi4ELi4ELi4ELi1ENST_IJLi8ELi2EEEES1W_NST_IJLi8ELi1ELi1ELi4EEEENST_IJLi2ELi1ELi128ELi1EEEENST_IJLi1ELi2ELi0ELi3EEEES1Z_NST_IJLi4ELi1ELi1ELi4EEEES1Z_NST_IJLi1ELi1ELi1ELi4EEEES1X_S1Y_S1Z_S1Z_S20_S1Z_S21_NST_IJLi0ELi1ELi2ELi3ELi4ELi5EEEELi5ELi4EEEaNS5_IJPKaEEEaS8_S8_S9_NSB_INS5_IJSE_SG_SI_SI_SG_SG_SK_SK_SG_SN_SN_SP_SP_SR_SG_SG_NSQ_INS5_IJiNS_17integral_constantIiLi128EEEEEELb0EEENSF_INS27_IiLi4EEEEEEEENS5_IJSU_SV_SW_SX_SY_SZ_S10_S11_S12_S13_S14_S15_S16_S17_S18_NST_IJLi19EEEES1G_NST_IJLi20EEEEEEENS5_IJS1A_SZ_S10_S11_S12_S1B_S1C_S1D_S1E_S15_S16_S18_S17_S1F_S1G_NST_IJLi22EEEENST_IJLi23ELi24EEEENST_IJLi25EEEEEEENST_IJLi22ELi23ELi24ELi25EEEElEENSB_INS5_IJSR_SP_SP_SR_SG_SG_S2A_S2C_EEENS5_IJSU_SV_SW_SY_SX_SZ_S11_S10_EEENS5_IJS1M_SX_SY_S1N_S11_S12_NST_IJLi9ELi10EEEENST_IJLi11EEEEEEENST_IJLi8ELi9ELi10ELi11EEEElEENS5_IJNSB_INS5_IJSK_SP_SP_NSQ_INS5_IJiNS27_IiLi2EEENS27_IiLi64EEEEEELb0EEES2X_EEENS5_IJSU_SV_SW_SX_SY_EEENS5_IJS1M_SX_SY_NST_IJLi5ELi6ELi7EEEENST_IJLi8ELi9ELi10EEEEEEENST_IJLi5ELi6ELi7ELi8ELi9ELi10EEEElEEEEES34_NS_31BlockToCTileMap_M00_N00_M01_N01ILi128ELi128ES1V_Lb0EEENS1_30ComputePtrOffsetOfStridedBatchILi1ELi1ELi1EvEELb0ELb1EEEvPKT0_S3C_T1_PT2_T3_T4_T5_iT6_T7_T8_T9_T10_T11_, .Lfunc_end8-_ZN2ck16tensor_operation6device12_GLOBAL__N_137kernel_grouped_conv_fwd_dl_multiple_dINS_32GridwiseGemmDlMultipleD_km_kn_mnILi256EaiNS_5TupleIJaEEEaNS0_12element_wise11PassThroughES8_NS7_7AddReluELNS_25InMemoryDataOperationEnumE0ENS_16TensorDescriptorINS5_IJNS_5EmbedINS5_IJiiiiEEESD_Lb0EEENS_11PassThroughIiEENS_3PadIiiiLb0EEESI_SG_SG_NSC_INS5_IJiiEEESJ_Lb0EEESK_SG_NS_23Merge_v2_magic_divisionINS5_IJiiiEEEEESN_NS_8RightPadIiiLb0EEESP_NS_7UnMergeISJ_Lb0EEESG_EEENS5_IJNS_8SequenceIJLi0EEEENST_IJLi1EEEENST_IJLi2EEEENST_IJLi3EEEENST_IJLi4EEEENST_IJLi5EEEENST_IJLi6EEEENST_IJLi7EEEENST_IJLi8EEEENST_IJLi9ELi11ELi13EEEENST_IJLi10ELi12ELi14EEEENST_IJLi15EEEENST_IJLi16EEEENST_IJLi18EEEENST_IJLi17EEEEEEENS5_IJNST_IJLi1ELi2ELi3ELi4EEEESZ_S10_S11_S12_NST_IJLi9EEEENST_IJLi10ELi11EEEENST_IJLi12ELi13EEEENST_IJLi14EEEES15_S16_S18_S17_NST_IJLi19ELi20EEEENST_IJLi21EEEEEEENST_IJLi19ELi21ELi20EEEElEENSB_INS5_IJSR_SP_SP_SR_SG_EEENS5_IJSU_SV_SW_SY_SX_EEENS5_IJNST_IJLi1ELi2EEEESX_SY_NST_IJLi5ELi6EEEES11_EEENST_IJLi5ELi7ELi6EEEElEENSB_INS5_IJSK_SP_SP_EEENS5_IJSU_SV_SW_EEENS5_IJS1M_SX_SY_EEENST_IJLi3ELi4EEEElEELi128ELi128ELi16ELi4ELi4ELi4ELi1ENST_IJLi8ELi2EEEES1W_NST_IJLi8ELi1ELi1ELi4EEEENST_IJLi2ELi1ELi128ELi1EEEENST_IJLi1ELi2ELi0ELi3EEEES1Z_NST_IJLi4ELi1ELi1ELi4EEEES1Z_NST_IJLi1ELi1ELi1ELi4EEEES1X_S1Y_S1Z_S1Z_S20_S1Z_S21_NST_IJLi0ELi1ELi2ELi3ELi4ELi5EEEELi5ELi4EEEaNS5_IJPKaEEEaS8_S8_S9_NSB_INS5_IJSE_SG_SI_SI_SG_SG_SK_SK_SG_SN_SN_SP_SP_SR_SG_SG_NSQ_INS5_IJiNS_17integral_constantIiLi128EEEEEELb0EEENSF_INS27_IiLi4EEEEEEEENS5_IJSU_SV_SW_SX_SY_SZ_S10_S11_S12_S13_S14_S15_S16_S17_S18_NST_IJLi19EEEES1G_NST_IJLi20EEEEEEENS5_IJS1A_SZ_S10_S11_S12_S1B_S1C_S1D_S1E_S15_S16_S18_S17_S1F_S1G_NST_IJLi22EEEENST_IJLi23ELi24EEEENST_IJLi25EEEEEEENST_IJLi22ELi23ELi24ELi25EEEElEENSB_INS5_IJSR_SP_SP_SR_SG_SG_S2A_S2C_EEENS5_IJSU_SV_SW_SY_SX_SZ_S11_S10_EEENS5_IJS1M_SX_SY_S1N_S11_S12_NST_IJLi9ELi10EEEENST_IJLi11EEEEEEENST_IJLi8ELi9ELi10ELi11EEEElEENS5_IJNSB_INS5_IJSK_SP_SP_NSQ_INS5_IJiNS27_IiLi2EEENS27_IiLi64EEEEEELb0EEES2X_EEENS5_IJSU_SV_SW_SX_SY_EEENS5_IJS1M_SX_SY_NST_IJLi5ELi6ELi7EEEENST_IJLi8ELi9ELi10EEEEEEENST_IJLi5ELi6ELi7ELi8ELi9ELi10EEEElEEEEES34_NS_31BlockToCTileMap_M00_N00_M01_N01ILi128ELi128ES1V_Lb0EEENS1_30ComputePtrOffsetOfStridedBatchILi1ELi1ELi1EvEELb0ELb1EEEvPKT0_S3C_T1_PT2_T3_T4_T5_iT6_T7_T8_T9_T10_T11_
                                        ; -- End function
	.section	.AMDGPU.csdata,"",@progbits
; Kernel info:
; codeLenInByte = 11496
; NumSgprs: 88
; NumVgprs: 74
; NumAgprs: 0
; TotalNumVgprs: 74
; ScratchSize: 480
; MemoryBound: 0
; FloatMode: 240
; IeeeMode: 1
; LDSByteSize: 32768 bytes/workgroup (compile time only)
; SGPRBlocks: 10
; VGPRBlocks: 9
; NumSGPRsForWavesPerEU: 88
; NumVGPRsForWavesPerEU: 74
; AccumOffset: 76
; Occupancy: 2
; WaveLimiterHint : 1
; COMPUTE_PGM_RSRC2:SCRATCH_EN: 1
; COMPUTE_PGM_RSRC2:USER_SGPR: 8
; COMPUTE_PGM_RSRC2:TRAP_HANDLER: 0
; COMPUTE_PGM_RSRC2:TGID_X_EN: 1
; COMPUTE_PGM_RSRC2:TGID_Y_EN: 0
; COMPUTE_PGM_RSRC2:TGID_Z_EN: 0
; COMPUTE_PGM_RSRC2:TIDIG_COMP_CNT: 0
; COMPUTE_PGM_RSRC3_GFX90A:ACCUM_OFFSET: 18
; COMPUTE_PGM_RSRC3_GFX90A:TG_SPLIT: 0
	.section	.text._ZN2ck16tensor_operation6device12_GLOBAL__N_137kernel_grouped_conv_fwd_dl_multiple_dINS_32GridwiseGemmDlMultipleD_km_kn_mnILi256EaiNS_5TupleIJaEEEaNS0_12element_wise11PassThroughES8_NS7_7AddReluELNS_25InMemoryDataOperationEnumE0ENS_16TensorDescriptorINS5_IJNS_5EmbedINS5_IJiiiiEEESD_Lb0EEENS_11PassThroughIiEENS_3PadIiiiLb0EEESI_SG_SG_NSC_INS5_IJiiEEESJ_Lb0EEESK_SG_NS_23Merge_v2_magic_divisionINS5_IJiiiEEEEESN_NS_8RightPadIiiLb0EEESP_NS_7UnMergeISJ_Lb0EEESG_EEENS5_IJNS_8SequenceIJLi0EEEENST_IJLi1EEEENST_IJLi2EEEENST_IJLi3EEEENST_IJLi4EEEENST_IJLi5EEEENST_IJLi6EEEENST_IJLi7EEEENST_IJLi8EEEENST_IJLi9ELi11ELi13EEEENST_IJLi10ELi12ELi14EEEENST_IJLi15EEEENST_IJLi16EEEENST_IJLi18EEEENST_IJLi17EEEEEEENS5_IJNST_IJLi1ELi2ELi3ELi4EEEESZ_S10_S11_S12_NST_IJLi9EEEENST_IJLi10ELi11EEEENST_IJLi12ELi13EEEENST_IJLi14EEEES15_S16_S18_S17_NST_IJLi19ELi20EEEENST_IJLi21EEEEEEENST_IJLi19ELi21ELi20EEEElEENSB_INS5_IJSR_SP_SP_SR_SG_EEENS5_IJSU_SV_SW_SY_SX_EEENS5_IJNST_IJLi1ELi2EEEESX_SY_NST_IJLi5ELi6EEEES11_EEENST_IJLi5ELi7ELi6EEEElEENSB_INS5_IJSK_SP_SP_EEENS5_IJSU_SV_SW_EEENS5_IJS1M_SX_SY_EEENST_IJLi3ELi4EEEElEELi128ELi128ELi16ELi4ELi4ELi4ELi1ENST_IJLi8ELi2EEEES1W_NST_IJLi8ELi1ELi1ELi4EEEENST_IJLi2ELi1ELi128ELi1EEEENST_IJLi1ELi2ELi0ELi3EEEES1Z_NST_IJLi4ELi1ELi1ELi4EEEES1Z_NST_IJLi1ELi1ELi1ELi4EEEES1X_S1Y_S1Z_S1Z_S20_S1Z_S21_NST_IJLi0ELi1ELi2ELi3ELi4ELi5EEEELi5ELi4EEEaNS5_IJPKaEEEaS8_S8_S9_NSB_INS5_IJSE_SG_SI_SI_SG_SG_SK_SK_SG_SN_SN_SP_SP_SR_SG_SG_NSQ_INS5_IJiNS_17integral_constantIiLi128EEEEEELb0EEENSF_INS27_IiLi4EEEEEEEENS5_IJSU_SV_SW_SX_SY_SZ_S10_S11_S12_S13_S14_S15_S16_S17_S18_NST_IJLi19EEEES1G_NST_IJLi20EEEEEEENS5_IJS1A_SZ_S10_S11_S12_S1B_S1C_S1D_S1E_S15_S16_S18_S17_S1F_S1G_NST_IJLi22EEEENST_IJLi23ELi24EEEENST_IJLi25EEEEEEENST_IJLi22ELi23ELi24ELi25EEEElEENSB_INS5_IJSR_SP_SP_SR_SG_SG_S2A_S2C_EEENS5_IJSU_SV_SW_SY_SX_SZ_S11_S10_EEENS5_IJS1M_SX_SY_S1N_S11_S12_NST_IJLi9ELi10EEEENST_IJLi11EEEEEEENST_IJLi8ELi9ELi10ELi11EEEElEENS5_IJNSB_INS5_IJSK_SP_SP_NSQ_INS5_IJiNS27_IiLi2EEENS27_IiLi64EEEEEELb0EEES2X_EEENS5_IJSU_SV_SW_SX_SY_EEENS5_IJS1M_SX_SY_NST_IJLi5ELi6ELi7EEEENST_IJLi8ELi9ELi10EEEEEEENST_IJLi5ELi6ELi7ELi8ELi9ELi10EEEElEEEEES34_NS_31BlockToCTileMap_M00_N00_M01_N01ILi128ELi128ES1V_Lb0EEENS1_30ComputePtrOffsetOfStridedBatchILi1ELi1ELi1EvEELb0ELb0EEEvPKT0_S3C_T1_PT2_T3_T4_T5_iT6_T7_T8_T9_T10_T11_,"axG",@progbits,_ZN2ck16tensor_operation6device12_GLOBAL__N_137kernel_grouped_conv_fwd_dl_multiple_dINS_32GridwiseGemmDlMultipleD_km_kn_mnILi256EaiNS_5TupleIJaEEEaNS0_12element_wise11PassThroughES8_NS7_7AddReluELNS_25InMemoryDataOperationEnumE0ENS_16TensorDescriptorINS5_IJNS_5EmbedINS5_IJiiiiEEESD_Lb0EEENS_11PassThroughIiEENS_3PadIiiiLb0EEESI_SG_SG_NSC_INS5_IJiiEEESJ_Lb0EEESK_SG_NS_23Merge_v2_magic_divisionINS5_IJiiiEEEEESN_NS_8RightPadIiiLb0EEESP_NS_7UnMergeISJ_Lb0EEESG_EEENS5_IJNS_8SequenceIJLi0EEEENST_IJLi1EEEENST_IJLi2EEEENST_IJLi3EEEENST_IJLi4EEEENST_IJLi5EEEENST_IJLi6EEEENST_IJLi7EEEENST_IJLi8EEEENST_IJLi9ELi11ELi13EEEENST_IJLi10ELi12ELi14EEEENST_IJLi15EEEENST_IJLi16EEEENST_IJLi18EEEENST_IJLi17EEEEEEENS5_IJNST_IJLi1ELi2ELi3ELi4EEEESZ_S10_S11_S12_NST_IJLi9EEEENST_IJLi10ELi11EEEENST_IJLi12ELi13EEEENST_IJLi14EEEES15_S16_S18_S17_NST_IJLi19ELi20EEEENST_IJLi21EEEEEEENST_IJLi19ELi21ELi20EEEElEENSB_INS5_IJSR_SP_SP_SR_SG_EEENS5_IJSU_SV_SW_SY_SX_EEENS5_IJNST_IJLi1ELi2EEEESX_SY_NST_IJLi5ELi6EEEES11_EEENST_IJLi5ELi7ELi6EEEElEENSB_INS5_IJSK_SP_SP_EEENS5_IJSU_SV_SW_EEENS5_IJS1M_SX_SY_EEENST_IJLi3ELi4EEEElEELi128ELi128ELi16ELi4ELi4ELi4ELi1ENST_IJLi8ELi2EEEES1W_NST_IJLi8ELi1ELi1ELi4EEEENST_IJLi2ELi1ELi128ELi1EEEENST_IJLi1ELi2ELi0ELi3EEEES1Z_NST_IJLi4ELi1ELi1ELi4EEEES1Z_NST_IJLi1ELi1ELi1ELi4EEEES1X_S1Y_S1Z_S1Z_S20_S1Z_S21_NST_IJLi0ELi1ELi2ELi3ELi4ELi5EEEELi5ELi4EEEaNS5_IJPKaEEEaS8_S8_S9_NSB_INS5_IJSE_SG_SI_SI_SG_SG_SK_SK_SG_SN_SN_SP_SP_SR_SG_SG_NSQ_INS5_IJiNS_17integral_constantIiLi128EEEEEELb0EEENSF_INS27_IiLi4EEEEEEEENS5_IJSU_SV_SW_SX_SY_SZ_S10_S11_S12_S13_S14_S15_S16_S17_S18_NST_IJLi19EEEES1G_NST_IJLi20EEEEEEENS5_IJS1A_SZ_S10_S11_S12_S1B_S1C_S1D_S1E_S15_S16_S18_S17_S1F_S1G_NST_IJLi22EEEENST_IJLi23ELi24EEEENST_IJLi25EEEEEEENST_IJLi22ELi23ELi24ELi25EEEElEENSB_INS5_IJSR_SP_SP_SR_SG_SG_S2A_S2C_EEENS5_IJSU_SV_SW_SY_SX_SZ_S11_S10_EEENS5_IJS1M_SX_SY_S1N_S11_S12_NST_IJLi9ELi10EEEENST_IJLi11EEEEEEENST_IJLi8ELi9ELi10ELi11EEEElEENS5_IJNSB_INS5_IJSK_SP_SP_NSQ_INS5_IJiNS27_IiLi2EEENS27_IiLi64EEEEEELb0EEES2X_EEENS5_IJSU_SV_SW_SX_SY_EEENS5_IJS1M_SX_SY_NST_IJLi5ELi6ELi7EEEENST_IJLi8ELi9ELi10EEEEEEENST_IJLi5ELi6ELi7ELi8ELi9ELi10EEEElEEEEES34_NS_31BlockToCTileMap_M00_N00_M01_N01ILi128ELi128ES1V_Lb0EEENS1_30ComputePtrOffsetOfStridedBatchILi1ELi1ELi1EvEELb0ELb0EEEvPKT0_S3C_T1_PT2_T3_T4_T5_iT6_T7_T8_T9_T10_T11_,comdat
	.globl	_ZN2ck16tensor_operation6device12_GLOBAL__N_137kernel_grouped_conv_fwd_dl_multiple_dINS_32GridwiseGemmDlMultipleD_km_kn_mnILi256EaiNS_5TupleIJaEEEaNS0_12element_wise11PassThroughES8_NS7_7AddReluELNS_25InMemoryDataOperationEnumE0ENS_16TensorDescriptorINS5_IJNS_5EmbedINS5_IJiiiiEEESD_Lb0EEENS_11PassThroughIiEENS_3PadIiiiLb0EEESI_SG_SG_NSC_INS5_IJiiEEESJ_Lb0EEESK_SG_NS_23Merge_v2_magic_divisionINS5_IJiiiEEEEESN_NS_8RightPadIiiLb0EEESP_NS_7UnMergeISJ_Lb0EEESG_EEENS5_IJNS_8SequenceIJLi0EEEENST_IJLi1EEEENST_IJLi2EEEENST_IJLi3EEEENST_IJLi4EEEENST_IJLi5EEEENST_IJLi6EEEENST_IJLi7EEEENST_IJLi8EEEENST_IJLi9ELi11ELi13EEEENST_IJLi10ELi12ELi14EEEENST_IJLi15EEEENST_IJLi16EEEENST_IJLi18EEEENST_IJLi17EEEEEEENS5_IJNST_IJLi1ELi2ELi3ELi4EEEESZ_S10_S11_S12_NST_IJLi9EEEENST_IJLi10ELi11EEEENST_IJLi12ELi13EEEENST_IJLi14EEEES15_S16_S18_S17_NST_IJLi19ELi20EEEENST_IJLi21EEEEEEENST_IJLi19ELi21ELi20EEEElEENSB_INS5_IJSR_SP_SP_SR_SG_EEENS5_IJSU_SV_SW_SY_SX_EEENS5_IJNST_IJLi1ELi2EEEESX_SY_NST_IJLi5ELi6EEEES11_EEENST_IJLi5ELi7ELi6EEEElEENSB_INS5_IJSK_SP_SP_EEENS5_IJSU_SV_SW_EEENS5_IJS1M_SX_SY_EEENST_IJLi3ELi4EEEElEELi128ELi128ELi16ELi4ELi4ELi4ELi1ENST_IJLi8ELi2EEEES1W_NST_IJLi8ELi1ELi1ELi4EEEENST_IJLi2ELi1ELi128ELi1EEEENST_IJLi1ELi2ELi0ELi3EEEES1Z_NST_IJLi4ELi1ELi1ELi4EEEES1Z_NST_IJLi1ELi1ELi1ELi4EEEES1X_S1Y_S1Z_S1Z_S20_S1Z_S21_NST_IJLi0ELi1ELi2ELi3ELi4ELi5EEEELi5ELi4EEEaNS5_IJPKaEEEaS8_S8_S9_NSB_INS5_IJSE_SG_SI_SI_SG_SG_SK_SK_SG_SN_SN_SP_SP_SR_SG_SG_NSQ_INS5_IJiNS_17integral_constantIiLi128EEEEEELb0EEENSF_INS27_IiLi4EEEEEEEENS5_IJSU_SV_SW_SX_SY_SZ_S10_S11_S12_S13_S14_S15_S16_S17_S18_NST_IJLi19EEEES1G_NST_IJLi20EEEEEEENS5_IJS1A_SZ_S10_S11_S12_S1B_S1C_S1D_S1E_S15_S16_S18_S17_S1F_S1G_NST_IJLi22EEEENST_IJLi23ELi24EEEENST_IJLi25EEEEEEENST_IJLi22ELi23ELi24ELi25EEEElEENSB_INS5_IJSR_SP_SP_SR_SG_SG_S2A_S2C_EEENS5_IJSU_SV_SW_SY_SX_SZ_S11_S10_EEENS5_IJS1M_SX_SY_S1N_S11_S12_NST_IJLi9ELi10EEEENST_IJLi11EEEEEEENST_IJLi8ELi9ELi10ELi11EEEElEENS5_IJNSB_INS5_IJSK_SP_SP_NSQ_INS5_IJiNS27_IiLi2EEENS27_IiLi64EEEEEELb0EEES2X_EEENS5_IJSU_SV_SW_SX_SY_EEENS5_IJS1M_SX_SY_NST_IJLi5ELi6ELi7EEEENST_IJLi8ELi9ELi10EEEEEEENST_IJLi5ELi6ELi7ELi8ELi9ELi10EEEElEEEEES34_NS_31BlockToCTileMap_M00_N00_M01_N01ILi128ELi128ES1V_Lb0EEENS1_30ComputePtrOffsetOfStridedBatchILi1ELi1ELi1EvEELb0ELb0EEEvPKT0_S3C_T1_PT2_T3_T4_T5_iT6_T7_T8_T9_T10_T11_ ; -- Begin function _ZN2ck16tensor_operation6device12_GLOBAL__N_137kernel_grouped_conv_fwd_dl_multiple_dINS_32GridwiseGemmDlMultipleD_km_kn_mnILi256EaiNS_5TupleIJaEEEaNS0_12element_wise11PassThroughES8_NS7_7AddReluELNS_25InMemoryDataOperationEnumE0ENS_16TensorDescriptorINS5_IJNS_5EmbedINS5_IJiiiiEEESD_Lb0EEENS_11PassThroughIiEENS_3PadIiiiLb0EEESI_SG_SG_NSC_INS5_IJiiEEESJ_Lb0EEESK_SG_NS_23Merge_v2_magic_divisionINS5_IJiiiEEEEESN_NS_8RightPadIiiLb0EEESP_NS_7UnMergeISJ_Lb0EEESG_EEENS5_IJNS_8SequenceIJLi0EEEENST_IJLi1EEEENST_IJLi2EEEENST_IJLi3EEEENST_IJLi4EEEENST_IJLi5EEEENST_IJLi6EEEENST_IJLi7EEEENST_IJLi8EEEENST_IJLi9ELi11ELi13EEEENST_IJLi10ELi12ELi14EEEENST_IJLi15EEEENST_IJLi16EEEENST_IJLi18EEEENST_IJLi17EEEEEEENS5_IJNST_IJLi1ELi2ELi3ELi4EEEESZ_S10_S11_S12_NST_IJLi9EEEENST_IJLi10ELi11EEEENST_IJLi12ELi13EEEENST_IJLi14EEEES15_S16_S18_S17_NST_IJLi19ELi20EEEENST_IJLi21EEEEEEENST_IJLi19ELi21ELi20EEEElEENSB_INS5_IJSR_SP_SP_SR_SG_EEENS5_IJSU_SV_SW_SY_SX_EEENS5_IJNST_IJLi1ELi2EEEESX_SY_NST_IJLi5ELi6EEEES11_EEENST_IJLi5ELi7ELi6EEEElEENSB_INS5_IJSK_SP_SP_EEENS5_IJSU_SV_SW_EEENS5_IJS1M_SX_SY_EEENST_IJLi3ELi4EEEElEELi128ELi128ELi16ELi4ELi4ELi4ELi1ENST_IJLi8ELi2EEEES1W_NST_IJLi8ELi1ELi1ELi4EEEENST_IJLi2ELi1ELi128ELi1EEEENST_IJLi1ELi2ELi0ELi3EEEES1Z_NST_IJLi4ELi1ELi1ELi4EEEES1Z_NST_IJLi1ELi1ELi1ELi4EEEES1X_S1Y_S1Z_S1Z_S20_S1Z_S21_NST_IJLi0ELi1ELi2ELi3ELi4ELi5EEEELi5ELi4EEEaNS5_IJPKaEEEaS8_S8_S9_NSB_INS5_IJSE_SG_SI_SI_SG_SG_SK_SK_SG_SN_SN_SP_SP_SR_SG_SG_NSQ_INS5_IJiNS_17integral_constantIiLi128EEEEEELb0EEENSF_INS27_IiLi4EEEEEEEENS5_IJSU_SV_SW_SX_SY_SZ_S10_S11_S12_S13_S14_S15_S16_S17_S18_NST_IJLi19EEEES1G_NST_IJLi20EEEEEEENS5_IJS1A_SZ_S10_S11_S12_S1B_S1C_S1D_S1E_S15_S16_S18_S17_S1F_S1G_NST_IJLi22EEEENST_IJLi23ELi24EEEENST_IJLi25EEEEEEENST_IJLi22ELi23ELi24ELi25EEEElEENSB_INS5_IJSR_SP_SP_SR_SG_SG_S2A_S2C_EEENS5_IJSU_SV_SW_SY_SX_SZ_S11_S10_EEENS5_IJS1M_SX_SY_S1N_S11_S12_NST_IJLi9ELi10EEEENST_IJLi11EEEEEEENST_IJLi8ELi9ELi10ELi11EEEElEENS5_IJNSB_INS5_IJSK_SP_SP_NSQ_INS5_IJiNS27_IiLi2EEENS27_IiLi64EEEEEELb0EEES2X_EEENS5_IJSU_SV_SW_SX_SY_EEENS5_IJS1M_SX_SY_NST_IJLi5ELi6ELi7EEEENST_IJLi8ELi9ELi10EEEEEEENST_IJLi5ELi6ELi7ELi8ELi9ELi10EEEElEEEEES34_NS_31BlockToCTileMap_M00_N00_M01_N01ILi128ELi128ES1V_Lb0EEENS1_30ComputePtrOffsetOfStridedBatchILi1ELi1ELi1EvEELb0ELb0EEEvPKT0_S3C_T1_PT2_T3_T4_T5_iT6_T7_T8_T9_T10_T11_
	.p2align	8
	.type	_ZN2ck16tensor_operation6device12_GLOBAL__N_137kernel_grouped_conv_fwd_dl_multiple_dINS_32GridwiseGemmDlMultipleD_km_kn_mnILi256EaiNS_5TupleIJaEEEaNS0_12element_wise11PassThroughES8_NS7_7AddReluELNS_25InMemoryDataOperationEnumE0ENS_16TensorDescriptorINS5_IJNS_5EmbedINS5_IJiiiiEEESD_Lb0EEENS_11PassThroughIiEENS_3PadIiiiLb0EEESI_SG_SG_NSC_INS5_IJiiEEESJ_Lb0EEESK_SG_NS_23Merge_v2_magic_divisionINS5_IJiiiEEEEESN_NS_8RightPadIiiLb0EEESP_NS_7UnMergeISJ_Lb0EEESG_EEENS5_IJNS_8SequenceIJLi0EEEENST_IJLi1EEEENST_IJLi2EEEENST_IJLi3EEEENST_IJLi4EEEENST_IJLi5EEEENST_IJLi6EEEENST_IJLi7EEEENST_IJLi8EEEENST_IJLi9ELi11ELi13EEEENST_IJLi10ELi12ELi14EEEENST_IJLi15EEEENST_IJLi16EEEENST_IJLi18EEEENST_IJLi17EEEEEEENS5_IJNST_IJLi1ELi2ELi3ELi4EEEESZ_S10_S11_S12_NST_IJLi9EEEENST_IJLi10ELi11EEEENST_IJLi12ELi13EEEENST_IJLi14EEEES15_S16_S18_S17_NST_IJLi19ELi20EEEENST_IJLi21EEEEEEENST_IJLi19ELi21ELi20EEEElEENSB_INS5_IJSR_SP_SP_SR_SG_EEENS5_IJSU_SV_SW_SY_SX_EEENS5_IJNST_IJLi1ELi2EEEESX_SY_NST_IJLi5ELi6EEEES11_EEENST_IJLi5ELi7ELi6EEEElEENSB_INS5_IJSK_SP_SP_EEENS5_IJSU_SV_SW_EEENS5_IJS1M_SX_SY_EEENST_IJLi3ELi4EEEElEELi128ELi128ELi16ELi4ELi4ELi4ELi1ENST_IJLi8ELi2EEEES1W_NST_IJLi8ELi1ELi1ELi4EEEENST_IJLi2ELi1ELi128ELi1EEEENST_IJLi1ELi2ELi0ELi3EEEES1Z_NST_IJLi4ELi1ELi1ELi4EEEES1Z_NST_IJLi1ELi1ELi1ELi4EEEES1X_S1Y_S1Z_S1Z_S20_S1Z_S21_NST_IJLi0ELi1ELi2ELi3ELi4ELi5EEEELi5ELi4EEEaNS5_IJPKaEEEaS8_S8_S9_NSB_INS5_IJSE_SG_SI_SI_SG_SG_SK_SK_SG_SN_SN_SP_SP_SR_SG_SG_NSQ_INS5_IJiNS_17integral_constantIiLi128EEEEEELb0EEENSF_INS27_IiLi4EEEEEEEENS5_IJSU_SV_SW_SX_SY_SZ_S10_S11_S12_S13_S14_S15_S16_S17_S18_NST_IJLi19EEEES1G_NST_IJLi20EEEEEEENS5_IJS1A_SZ_S10_S11_S12_S1B_S1C_S1D_S1E_S15_S16_S18_S17_S1F_S1G_NST_IJLi22EEEENST_IJLi23ELi24EEEENST_IJLi25EEEEEEENST_IJLi22ELi23ELi24ELi25EEEElEENSB_INS5_IJSR_SP_SP_SR_SG_SG_S2A_S2C_EEENS5_IJSU_SV_SW_SY_SX_SZ_S11_S10_EEENS5_IJS1M_SX_SY_S1N_S11_S12_NST_IJLi9ELi10EEEENST_IJLi11EEEEEEENST_IJLi8ELi9ELi10ELi11EEEElEENS5_IJNSB_INS5_IJSK_SP_SP_NSQ_INS5_IJiNS27_IiLi2EEENS27_IiLi64EEEEEELb0EEES2X_EEENS5_IJSU_SV_SW_SX_SY_EEENS5_IJS1M_SX_SY_NST_IJLi5ELi6ELi7EEEENST_IJLi8ELi9ELi10EEEEEEENST_IJLi5ELi6ELi7ELi8ELi9ELi10EEEElEEEEES34_NS_31BlockToCTileMap_M00_N00_M01_N01ILi128ELi128ES1V_Lb0EEENS1_30ComputePtrOffsetOfStridedBatchILi1ELi1ELi1EvEELb0ELb0EEEvPKT0_S3C_T1_PT2_T3_T4_T5_iT6_T7_T8_T9_T10_T11_,@function
_ZN2ck16tensor_operation6device12_GLOBAL__N_137kernel_grouped_conv_fwd_dl_multiple_dINS_32GridwiseGemmDlMultipleD_km_kn_mnILi256EaiNS_5TupleIJaEEEaNS0_12element_wise11PassThroughES8_NS7_7AddReluELNS_25InMemoryDataOperationEnumE0ENS_16TensorDescriptorINS5_IJNS_5EmbedINS5_IJiiiiEEESD_Lb0EEENS_11PassThroughIiEENS_3PadIiiiLb0EEESI_SG_SG_NSC_INS5_IJiiEEESJ_Lb0EEESK_SG_NS_23Merge_v2_magic_divisionINS5_IJiiiEEEEESN_NS_8RightPadIiiLb0EEESP_NS_7UnMergeISJ_Lb0EEESG_EEENS5_IJNS_8SequenceIJLi0EEEENST_IJLi1EEEENST_IJLi2EEEENST_IJLi3EEEENST_IJLi4EEEENST_IJLi5EEEENST_IJLi6EEEENST_IJLi7EEEENST_IJLi8EEEENST_IJLi9ELi11ELi13EEEENST_IJLi10ELi12ELi14EEEENST_IJLi15EEEENST_IJLi16EEEENST_IJLi18EEEENST_IJLi17EEEEEEENS5_IJNST_IJLi1ELi2ELi3ELi4EEEESZ_S10_S11_S12_NST_IJLi9EEEENST_IJLi10ELi11EEEENST_IJLi12ELi13EEEENST_IJLi14EEEES15_S16_S18_S17_NST_IJLi19ELi20EEEENST_IJLi21EEEEEEENST_IJLi19ELi21ELi20EEEElEENSB_INS5_IJSR_SP_SP_SR_SG_EEENS5_IJSU_SV_SW_SY_SX_EEENS5_IJNST_IJLi1ELi2EEEESX_SY_NST_IJLi5ELi6EEEES11_EEENST_IJLi5ELi7ELi6EEEElEENSB_INS5_IJSK_SP_SP_EEENS5_IJSU_SV_SW_EEENS5_IJS1M_SX_SY_EEENST_IJLi3ELi4EEEElEELi128ELi128ELi16ELi4ELi4ELi4ELi1ENST_IJLi8ELi2EEEES1W_NST_IJLi8ELi1ELi1ELi4EEEENST_IJLi2ELi1ELi128ELi1EEEENST_IJLi1ELi2ELi0ELi3EEEES1Z_NST_IJLi4ELi1ELi1ELi4EEEES1Z_NST_IJLi1ELi1ELi1ELi4EEEES1X_S1Y_S1Z_S1Z_S20_S1Z_S21_NST_IJLi0ELi1ELi2ELi3ELi4ELi5EEEELi5ELi4EEEaNS5_IJPKaEEEaS8_S8_S9_NSB_INS5_IJSE_SG_SI_SI_SG_SG_SK_SK_SG_SN_SN_SP_SP_SR_SG_SG_NSQ_INS5_IJiNS_17integral_constantIiLi128EEEEEELb0EEENSF_INS27_IiLi4EEEEEEEENS5_IJSU_SV_SW_SX_SY_SZ_S10_S11_S12_S13_S14_S15_S16_S17_S18_NST_IJLi19EEEES1G_NST_IJLi20EEEEEEENS5_IJS1A_SZ_S10_S11_S12_S1B_S1C_S1D_S1E_S15_S16_S18_S17_S1F_S1G_NST_IJLi22EEEENST_IJLi23ELi24EEEENST_IJLi25EEEEEEENST_IJLi22ELi23ELi24ELi25EEEElEENSB_INS5_IJSR_SP_SP_SR_SG_SG_S2A_S2C_EEENS5_IJSU_SV_SW_SY_SX_SZ_S11_S10_EEENS5_IJS1M_SX_SY_S1N_S11_S12_NST_IJLi9ELi10EEEENST_IJLi11EEEEEEENST_IJLi8ELi9ELi10ELi11EEEElEENS5_IJNSB_INS5_IJSK_SP_SP_NSQ_INS5_IJiNS27_IiLi2EEENS27_IiLi64EEEEEELb0EEES2X_EEENS5_IJSU_SV_SW_SX_SY_EEENS5_IJS1M_SX_SY_NST_IJLi5ELi6ELi7EEEENST_IJLi8ELi9ELi10EEEEEEENST_IJLi5ELi6ELi7ELi8ELi9ELi10EEEElEEEEES34_NS_31BlockToCTileMap_M00_N00_M01_N01ILi128ELi128ES1V_Lb0EEENS1_30ComputePtrOffsetOfStridedBatchILi1ELi1ELi1EvEELb0ELb0EEEvPKT0_S3C_T1_PT2_T3_T4_T5_iT6_T7_T8_T9_T10_T11_: ; @_ZN2ck16tensor_operation6device12_GLOBAL__N_137kernel_grouped_conv_fwd_dl_multiple_dINS_32GridwiseGemmDlMultipleD_km_kn_mnILi256EaiNS_5TupleIJaEEEaNS0_12element_wise11PassThroughES8_NS7_7AddReluELNS_25InMemoryDataOperationEnumE0ENS_16TensorDescriptorINS5_IJNS_5EmbedINS5_IJiiiiEEESD_Lb0EEENS_11PassThroughIiEENS_3PadIiiiLb0EEESI_SG_SG_NSC_INS5_IJiiEEESJ_Lb0EEESK_SG_NS_23Merge_v2_magic_divisionINS5_IJiiiEEEEESN_NS_8RightPadIiiLb0EEESP_NS_7UnMergeISJ_Lb0EEESG_EEENS5_IJNS_8SequenceIJLi0EEEENST_IJLi1EEEENST_IJLi2EEEENST_IJLi3EEEENST_IJLi4EEEENST_IJLi5EEEENST_IJLi6EEEENST_IJLi7EEEENST_IJLi8EEEENST_IJLi9ELi11ELi13EEEENST_IJLi10ELi12ELi14EEEENST_IJLi15EEEENST_IJLi16EEEENST_IJLi18EEEENST_IJLi17EEEEEEENS5_IJNST_IJLi1ELi2ELi3ELi4EEEESZ_S10_S11_S12_NST_IJLi9EEEENST_IJLi10ELi11EEEENST_IJLi12ELi13EEEENST_IJLi14EEEES15_S16_S18_S17_NST_IJLi19ELi20EEEENST_IJLi21EEEEEEENST_IJLi19ELi21ELi20EEEElEENSB_INS5_IJSR_SP_SP_SR_SG_EEENS5_IJSU_SV_SW_SY_SX_EEENS5_IJNST_IJLi1ELi2EEEESX_SY_NST_IJLi5ELi6EEEES11_EEENST_IJLi5ELi7ELi6EEEElEENSB_INS5_IJSK_SP_SP_EEENS5_IJSU_SV_SW_EEENS5_IJS1M_SX_SY_EEENST_IJLi3ELi4EEEElEELi128ELi128ELi16ELi4ELi4ELi4ELi1ENST_IJLi8ELi2EEEES1W_NST_IJLi8ELi1ELi1ELi4EEEENST_IJLi2ELi1ELi128ELi1EEEENST_IJLi1ELi2ELi0ELi3EEEES1Z_NST_IJLi4ELi1ELi1ELi4EEEES1Z_NST_IJLi1ELi1ELi1ELi4EEEES1X_S1Y_S1Z_S1Z_S20_S1Z_S21_NST_IJLi0ELi1ELi2ELi3ELi4ELi5EEEELi5ELi4EEEaNS5_IJPKaEEEaS8_S8_S9_NSB_INS5_IJSE_SG_SI_SI_SG_SG_SK_SK_SG_SN_SN_SP_SP_SR_SG_SG_NSQ_INS5_IJiNS_17integral_constantIiLi128EEEEEELb0EEENSF_INS27_IiLi4EEEEEEEENS5_IJSU_SV_SW_SX_SY_SZ_S10_S11_S12_S13_S14_S15_S16_S17_S18_NST_IJLi19EEEES1G_NST_IJLi20EEEEEEENS5_IJS1A_SZ_S10_S11_S12_S1B_S1C_S1D_S1E_S15_S16_S18_S17_S1F_S1G_NST_IJLi22EEEENST_IJLi23ELi24EEEENST_IJLi25EEEEEEENST_IJLi22ELi23ELi24ELi25EEEElEENSB_INS5_IJSR_SP_SP_SR_SG_SG_S2A_S2C_EEENS5_IJSU_SV_SW_SY_SX_SZ_S11_S10_EEENS5_IJS1M_SX_SY_S1N_S11_S12_NST_IJLi9ELi10EEEENST_IJLi11EEEEEEENST_IJLi8ELi9ELi10ELi11EEEElEENS5_IJNSB_INS5_IJSK_SP_SP_NSQ_INS5_IJiNS27_IiLi2EEENS27_IiLi64EEEEEELb0EEES2X_EEENS5_IJSU_SV_SW_SX_SY_EEENS5_IJS1M_SX_SY_NST_IJLi5ELi6ELi7EEEENST_IJLi8ELi9ELi10EEEEEEENST_IJLi5ELi6ELi7ELi8ELi9ELi10EEEElEEEEES34_NS_31BlockToCTileMap_M00_N00_M01_N01ILi128ELi128ES1V_Lb0EEENS1_30ComputePtrOffsetOfStridedBatchILi1ELi1ELi1EvEELb0ELb0EEEvPKT0_S3C_T1_PT2_T3_T4_T5_iT6_T7_T8_T9_T10_T11_
; %bb.0:
	s_add_u32 flat_scratch_lo, s6, s9
	s_addc_u32 flat_scratch_hi, s7, 0
	s_add_u32 s0, s0, s9
	s_addc_u32 s1, s1, 0
	s_load_dwordx8 s[12:19], s[4:5], 0x0
	s_load_dword s20, s[4:5], 0x24
	s_load_dwordx4 s[44:47], s[4:5], 0x38
	s_load_dwordx4 s[28:31], s[4:5], 0x4c
	s_load_dwordx2 s[64:65], s[4:5], 0x5c
	s_load_dwordx2 s[6:7], s[4:5], 0x74
	;; [unrolled: 1-line block ×9, first 2 shown]
	s_load_dword s80, s[4:5], 0x100
	s_load_dword s38, s[4:5], 0x128
	;; [unrolled: 1-line block ×7, first 2 shown]
	s_waitcnt lgkmcnt(0)
	s_abs_i32 s22, s20
	v_cvt_f32_u32_e32 v1, s22
	s_sub_i32 s23, 0, s22
	s_load_dword s50, s[4:5], 0x188
	s_load_dwordx2 s[34:35], s[4:5], 0x198
	s_load_dword s33, s[4:5], 0x1a4
	s_load_dword s78, s[4:5], 0x1b0
	;; [unrolled: 1-line block ×3, first 2 shown]
	s_xor_b32 s20, s21, s20
	v_rcp_iflag_f32_e32 v1, v1
	s_abs_i32 s21, s21
	s_ashr_i32 s20, s20, 31
	s_load_dword s39, s[4:5], 0x244
	s_load_dword s81, s[4:5], 0x254
	v_mul_f32_e32 v1, 0x4f7ffffe, v1
	v_cvt_u32_f32_e32 v1, v1
	s_load_dwordx4 s[52:55], s[4:5], 0x260
	s_load_dwordx4 s[60:63], s[4:5], 0x274
	;; [unrolled: 1-line block ×3, first 2 shown]
	v_lshrrev_b32_e32 v21, 1, v0
	v_mov_b32_e32 v34, 0
	v_readfirstlane_b32 s24, v1
	s_mul_i32 s23, s23, s24
	s_mul_hi_u32 s23, s24, s23
	s_add_i32 s24, s24, s23
	s_mul_hi_u32 s23, s21, s24
	s_mul_i32 s24, s23, s22
	s_sub_i32 s21, s21, s24
	s_add_i32 s24, s23, 1
	s_sub_i32 s25, s21, s22
	s_cmp_ge_u32 s21, s22
	s_cselect_b32 s23, s24, s23
	s_cselect_b32 s21, s25, s21
	s_add_i32 s24, s23, 1
	s_cmp_ge_u32 s21, s22
	s_cselect_b32 s21, s24, s23
	s_xor_b32 s21, s21, s20
	s_sub_i32 s36, s21, s20
	s_abs_i32 s37, s36
	v_cvt_f32_u32_e32 v1, s37
	s_sub_i32 s41, 0, s37
	s_abs_i32 s40, s8
	s_xor_b32 s36, s8, s36
	v_rcp_iflag_f32_e32 v1, v1
	s_ashr_i32 s36, s36, 31
	s_load_dwordx8 s[20:27], s[4:5], 0x2a0
	s_movk_i32 s32, 0x7000
	v_mul_f32_e32 v1, 0x4f7ffffe, v1
	v_cvt_u32_f32_e32 v1, v1
	v_readfirstlane_b32 s48, v1
	s_mul_i32 s41, s41, s48
	s_mul_hi_u32 s41, s48, s41
	s_add_i32 s48, s48, s41
	s_mul_hi_u32 s41, s40, s48
	s_mul_i32 s48, s41, s37
	s_sub_i32 s40, s40, s48
	s_add_i32 s48, s41, 1
	s_sub_i32 s49, s40, s37
	s_cmp_ge_u32 s40, s37
	s_cselect_b32 s41, s48, s41
	s_cselect_b32 s40, s49, s40
	s_add_i32 s48, s41, 1
	s_cmp_ge_u32 s40, s37
	s_cselect_b32 s37, s48, s41
	s_xor_b32 s37, s37, s36
	s_sub_i32 s36, s37, s36
	s_ashr_i32 s37, s36, 31
	s_waitcnt lgkmcnt(0)
	s_mul_i32 s40, s20, s37
	s_mul_hi_u32 s41, s20, s36
	s_add_i32 s40, s41, s40
	s_mul_i32 s21, s21, s36
	s_add_i32 s21, s40, s21
	s_mul_i32 s40, s22, s37
	s_mul_hi_u32 s41, s22, s36
	s_add_i32 s40, s41, s40
	s_mul_i32 s23, s23, s36
	s_add_i32 s23, s40, s23
	;; [unrolled: 5-line block ×4, first 2 shown]
	s_mul_i32 s24, s24, s36
	s_add_u32 s40, s16, s24
	s_mul_i32 s20, s20, s36
	s_addc_u32 s41, s17, s37
	s_mul_i32 s22, s22, s36
	s_mul_i32 s26, s26, s36
	s_add_u32 s36, s12, s20
	s_addc_u32 s37, s13, s21
	s_add_u32 s48, s14, s22
	s_addc_u32 s49, s15, s23
	s_add_u32 s12, s18, s26
	s_mul_hi_u32 s14, s63, s8
	s_addc_u32 s13, s19, s27
	s_add_i32 s14, s8, s14
	s_lshr_b32 s14, s14, s59
	s_mul_i32 s15, s14, s55
	s_sub_i32 s8, s8, s15
	s_mul_hi_u32 s15, s14, s62
	s_add_i32 s15, s14, s15
	s_lshr_b32 s15, s15, s58
	s_mul_i32 s16, s15, s54
	s_sub_i32 s14, s14, s16
	s_mul_hi_u32 s16, s15, s61
	s_add_i32 s16, s15, s16
	s_lshr_b32 s16, s16, s57
	s_mul_i32 s17, s16, s53
	v_lshlrev_b32_e32 v1, 3, v0
	s_sub_i32 s15, s15, s17
	s_mul_hi_u32 s17, s16, s60
	v_and_b32_e32 v22, 8, v1
	s_add_i32 s17, s16, s17
	v_mul_lo_u32 v24, s80, v22
	s_lshr_b32 s17, s17, s56
	v_mul_hi_u32 v1, v24, s71
	s_mul_i32 s17, s17, s52
	v_add_u32_e32 v1, v24, v1
	s_sub_i32 s16, s16, s17
	v_lshrrev_b32_e32 v1, s69, v1
	s_mul_i32 s16, s16, s39
	v_mul_hi_u32 v3, v1, s70
	s_mul_i32 s15, s15, s81
	s_add_i32 s14, s14, s16
	v_add_u32_e32 v3, v1, v3
	s_add_i32 s8, s8, s15
	s_lshl_b32 s15, s14, 7
	v_lshrrev_b32_e32 v8, s68, v3
	v_or_b32_e32 v23, s15, v21
	v_mul_lo_u32 v3, v8, s66
	v_mul_lo_u32 v2, v1, s67
	v_sub_u32_e32 v4, v1, v3
	v_mul_hi_u32 v1, v23, s77
	v_add_u32_e32 v1, v23, v1
	v_lshrrev_b32_e32 v1, s75, v1
	v_mul_hi_u32 v5, v1, s76
	v_add_u32_e32 v5, v1, v5
	v_lshrrev_b32_e32 v5, s74, v5
	v_mul_lo_u32 v3, v1, s73
	v_mul_lo_u32 v6, v5, s72
	v_sub_u32_e32 v3, v23, v3
	v_sub_u32_e32 v1, v1, v6
	v_mul_lo_u32 v6, v4, s10
	v_mad_u64_u32 v[16:17], s[16:17], v3, s11, v[6:7]
	v_mul_lo_u32 v6, v8, s6
	v_sub_u32_e32 v2, v24, v2
	v_mad_u64_u32 v[18:19], s[16:17], v1, s7, v[6:7]
	v_subrev_u32_e32 v1, s64, v16
	v_subrev_u32_e32 v3, s29, v18
	v_mul_lo_u32 v6, v2, s47
	v_mul_lo_u32 v5, v5, s44
	;; [unrolled: 1-line block ×3, first 2 shown]
	v_mad_u64_u32 v[6:7], s[16:17], v1, s46, v[6:7]
	v_add3_u32 v9, v6, v5, v3
	v_lshrrev_b32_e32 v1, 5, v0
	v_lshlrev_b32_e32 v5, 1, v0
	v_lshlrev_b32_e32 v3, 6, v1
	v_and_b32_e32 v6, 0x1f8, v5
	v_sub_u32_e32 v3, v6, v3
	v_lshlrev_b32_e32 v0, 2, v0
	v_and_or_b32 v35, v0, 4, v3
	v_and_b32_e32 v0, 0x1fc, v5
	v_sub_u32_e32 v0, v0, v6
	v_lshl_add_u32 v36, v1, 3, v0
	v_lshlrev_b32_e32 v0, 2, v36
	buffer_store_dword v34, off, s[0:3], 0 offset:64
	buffer_store_dword v36, off, s[0:3], 0 offset:68
	;; [unrolled: 1-line block ×12, first 2 shown]
	v_lshlrev_b32_e32 v0, 2, v35
	s_mov_b64 s[16:17], src_shared_base
	buffer_store_dword v0, off, s[0:3], 0 offset:112
	buffer_store_dword v34, off, s[0:3], 0 offset:116
	;; [unrolled: 1-line block ×72, first 2 shown]
	v_mov_b32_e32 v0, s17
	buffer_store_dword v0, off, s[0:3], 0 offset:404
	buffer_store_dword v34, off, s[0:3], 0 offset:400
	buffer_store_byte v34, off, s[0:3], 0 offset:409
	buffer_store_dword v0, off, s[0:3], 0 offset:420
	v_mov_b32_e32 v0, 0x4000
	buffer_store_dword v0, off, s[0:3], 0 offset:416
	buffer_store_byte v34, off, s[0:3], 0 offset:425
	v_or_b32_e32 v0, 4, v22
	v_mul_lo_u32 v17, s80, v0
	v_mul_hi_u32 v0, v17, s71
	v_add_u32_e32 v0, v17, v0
	v_lshrrev_b32_e32 v10, s69, v0
	v_mul_hi_u32 v5, v10, s70
	v_mad_u64_u32 v[6:7], s[16:17], v10, s67, v[2:3]
	v_add_u32_e32 v5, v10, v5
	s_mov_b32 s39, 0x20000
	v_lshrrev_b32_e32 v7, s68, v5
	buffer_load_dwordx4 v[0:3], v9, s[36:39], 0 offen
	v_mad_u64_u32 v[4:5], s[16:17], v7, s66, v[4:5]
	v_sub_u32_e32 v6, v17, v6
	v_sub_u32_e32 v4, v10, v4
	;; [unrolled: 1-line block ×3, first 2 shown]
	v_mul_lo_u32 v19, v4, s10
	v_mul_lo_u32 v25, v5, s6
	;; [unrolled: 1-line block ×4, first 2 shown]
	v_mad_u64_u32 v[4:5], s[6:7], v25, s45, v[4:5]
	v_add3_u32 v4, v4, v7, v9
	buffer_load_dwordx4 v[4:7], v4, s[36:39], 0 offen
	s_lshl_b32 s18, s8, 7
	v_or_b32_e32 v26, s18, v21
	v_mul_lo_u32 v20, s9, v22
	v_mad_u64_u32 v[12:13], s[6:7], v26, s51, v[20:21]
	s_mov_b32 s51, s39
	buffer_load_dwordx4 v[8:11], v12, s[48:51], 0 offen
	s_lshl_b32 s14, s9, 2
	v_add_u32_e32 v12, s14, v12
	buffer_load_dwordx4 v[12:15], v12, s[48:51], 0 offen
	s_load_dword s16, s[4:5], 0xf0
	s_load_dword s6, s[4:5], 0xe4
	s_sub_i32 s17, s31, s65
	v_cmp_le_i32_e64 s[8:9], s64, v16
	v_cmp_gt_i32_e64 s[10:11], s17, v16
	s_waitcnt lgkmcnt(0)
	v_cmp_gt_i32_e32 vcc, s16, v24
	s_and_b64 s[8:9], s[8:9], s[10:11]
	s_sub_i32 s19, s28, s30
	s_and_b64 s[10:11], vcc, s[8:9]
	v_cmp_le_i32_e32 vcc, s29, v18
	v_cmp_gt_i32_e64 s[8:9], s19, v18
	s_and_b64 s[8:9], vcc, s[8:9]
	v_cmp_gt_i32_e64 s[6:7], s6, v23
	s_and_b64 s[8:9], s[10:11], s[8:9]
	v_add_u32_e32 v16, v16, v19
	s_and_b64 vcc, s[6:7], s[8:9]
	v_cmp_le_i32_e64 s[8:9], s64, v16
	v_cmp_gt_i32_e64 s[10:11], s17, v16
	v_add_u32_e32 v18, v18, v25
	s_and_b64 s[8:9], s[8:9], s[10:11]
	v_add_u32_e32 v16, s14, v20
	v_lshlrev_b32_e32 v21, 2, v21
	v_lshl_or_b32 v21, v22, 9, v21
	s_waitcnt vmcnt(3)
	v_cndmask_b32_e32 v3, 0, v3, vcc
	v_cndmask_b32_e32 v2, 0, v2, vcc
	;; [unrolled: 1-line block ×4, first 2 shown]
	v_cmp_gt_i32_e32 vcc, s16, v17
	s_and_b64 s[10:11], vcc, s[8:9]
	v_cmp_le_i32_e32 vcc, s29, v18
	v_cmp_gt_i32_e64 s[8:9], s19, v18
	s_and_b64 s[8:9], vcc, s[8:9]
	s_and_b64 s[8:9], s[10:11], s[8:9]
	s_and_b64 vcc, s[6:7], s[8:9]
	v_cmp_gt_i32_e64 s[6:7], s79, v26
	s_waitcnt vmcnt(2)
	v_cndmask_b32_e32 v7, 0, v7, vcc
	v_cndmask_b32_e32 v6, 0, v6, vcc
	;; [unrolled: 1-line block ×4, first 2 shown]
	v_cmp_gt_i32_e32 vcc, s43, v20
	s_and_b64 vcc, vcc, s[6:7]
	s_waitcnt vmcnt(1)
	v_cndmask_b32_e32 v11, 0, v11, vcc
	v_cndmask_b32_e32 v10, 0, v10, vcc
	;; [unrolled: 1-line block ×4, first 2 shown]
	v_cmp_gt_i32_e32 vcc, s43, v16
	s_and_b64 vcc, vcc, s[6:7]
	s_mov_b32 s6, 0x3020104
	v_perm_b32 v0, v0, v0, s6
	ds_write2st64_b32 v21, v0, v1 offset1:2
	v_perm_b32 v0, v2, v2, s6
	ds_write2st64_b32 v21, v0, v3 offset0:4 offset1:6
	v_perm_b32 v0, v4, v4, s6
	ds_write2st64_b32 v21, v0, v5 offset0:8 offset1:10
	;; [unrolled: 2-line block ×3, first 2 shown]
	v_perm_b32 v0, v8, v8, s6
	s_waitcnt vmcnt(0)
	v_cndmask_b32_e32 v12, 0, v12, vcc
	ds_write2st64_b32 v21, v0, v9 offset0:64 offset1:66
	v_perm_b32 v0, v10, v10, s6
	v_cndmask_b32_e32 v14, 0, v14, vcc
	v_cndmask_b32_e32 v13, 0, v13, vcc
	ds_write2st64_b32 v21, v0, v11 offset0:68 offset1:70
	v_perm_b32 v0, v12, v12, s6
	v_cndmask_b32_e32 v15, 0, v15, vcc
	ds_write2st64_b32 v21, v0, v13 offset0:72 offset1:74
	v_perm_b32 v0, v14, v14, s6
	ds_write2st64_b32 v21, v0, v15 offset0:76 offset1:78
	s_waitcnt lgkmcnt(0)
	s_barrier
	buffer_load_dword v0, off, s[0:3], 0 offset:80
	buffer_load_dword v1, off, s[0:3], 0 offset:400
	;; [unrolled: 1-line block ×3, first 2 shown]
	s_nop 0
	buffer_store_dword v34, off, s[0:3], 0
	buffer_store_dword v34, off, s[0:3], 0 offset:4
	buffer_store_dword v34, off, s[0:3], 0 offset:8
	;; [unrolled: 1-line block ×15, first 2 shown]
	buffer_load_dword v16, off, s[0:3], 0 offset:180
	buffer_load_dword v17, off, s[0:3], 0 offset:184
	;; [unrolled: 1-line block ×13, first 2 shown]
	s_getpc_b64 s[6:7]
	s_add_u32 s6, s6, _ZNK2ck6detail15static_for_implINS_8SequenceIJLi1ELi2ELi3ELi4ELi5ELi6ELi7ELi8ELi9ELi10ELi11ELi12ELi13ELi14ELi15EEEEEclIZNKS_80BlockwiseGemmDl_A_BK0_BM_BK1_B_BK0_BN_BK1_C_BM0_BM1_BN0_BN1_pipeline_BM0_2_BN0_2ILi256EaaiKNS_16TensorDescriptorINS_5TupleIJNS_5EmbedINS8_IJNS_17integral_constantIiLi16EEENSA_IiLi128EEENSA_IiLi4EEEEEENS8_IJNSA_IiLi512EEESD_NSA_IiLi1EEEEEELb0EEEEEENS8_IJNS2_IJLi0EEEEEEENS8_IJNS2_IJLi1ELi2ELi3EEEEEEESM_NSA_IlLl8192EEEEESQ_Li4ELi4ELi1ENS2_IJLi8ELi2EEEESR_Li4ELi4ELb0EE3RunINS7_INS8_IJNS_7UnMergeINS8_IJNSA_IiLi2EEESD_SV_SD_EEELb0EEEEEESL_NS8_IJNS2_IJLi1ELi2ELi3ELi4EEEEEEESZ_NSA_IlLl64EEEEENS_13DynamicBufferILNS_16AddressSpaceEnumE2EaSO_Lb1ELNS_22AmdBufferCoherenceEnumE0EiEES16_NS_12StaticBufferILS14_4EiLi64ELb1EEEEEvRKT_RKT0_RKT1_RT2_EUlS19_E_EEvS19_@rel32@lo+4
	s_addc_u32 s7, s7, _ZNK2ck6detail15static_for_implINS_8SequenceIJLi1ELi2ELi3ELi4ELi5ELi6ELi7ELi8ELi9ELi10ELi11ELi12ELi13ELi14ELi15EEEEEclIZNKS_80BlockwiseGemmDl_A_BK0_BM_BK1_B_BK0_BN_BK1_C_BM0_BM1_BN0_BN1_pipeline_BM0_2_BN0_2ILi256EaaiKNS_16TensorDescriptorINS_5TupleIJNS_5EmbedINS8_IJNS_17integral_constantIiLi16EEENSA_IiLi128EEENSA_IiLi4EEEEEENS8_IJNSA_IiLi512EEESD_NSA_IiLi1EEEEEELb0EEEEEENS8_IJNS2_IJLi0EEEEEEENS8_IJNS2_IJLi1ELi2ELi3EEEEEEESM_NSA_IlLl8192EEEEESQ_Li4ELi4ELi1ENS2_IJLi8ELi2EEEESR_Li4ELi4ELb0EE3RunINS7_INS8_IJNS_7UnMergeINS8_IJNSA_IiLi2EEESD_SV_SD_EEELb0EEEEEESL_NS8_IJNS2_IJLi1ELi2ELi3ELi4EEEEEEESZ_NSA_IlLl64EEEEENS_13DynamicBufferILNS_16AddressSpaceEnumE2EaSO_Lb1ELNS_22AmdBufferCoherenceEnumE0EiEES16_NS_12StaticBufferILS14_4EiLi64ELb1EEEEEvRKT_RKT0_RKT1_RT2_EUlS19_E_EEvS19_@rel32@hi+12
	s_waitcnt vmcnt(31)
	v_ashrrev_i32_e32 v3, 31, v0
	s_waitcnt vmcnt(30)
	v_add_co_u32_e32 v12, vcc, v1, v0
	s_waitcnt vmcnt(29)
	v_addc_co_u32_e32 v13, vcc, v2, v3, vcc
	flat_load_dwordx4 v[0:3], v[12:13]
	s_waitcnt vmcnt(0)
	v_ashrrev_i32_e32 v7, 31, v6
	v_add_co_u32_e32 v8, vcc, v4, v6
	s_waitcnt lgkmcnt(0)
	buffer_store_dword v0, off, s[0:3], 0
	buffer_store_dword v1, off, s[0:3], 0 offset:4
	buffer_store_dword v2, off, s[0:3], 0 offset:8
	;; [unrolled: 1-line block ×3, first 2 shown]
	v_addc_co_u32_e32 v9, vcc, v5, v7, vcc
	buffer_load_dword v26, off, s[0:3], 0 offset:212
	buffer_load_dword v27, off, s[0:3], 0 offset:192
	;; [unrolled: 1-line block ×6, first 2 shown]
	flat_load_dwordx4 v[4:7], v[8:9]
	s_waitcnt vmcnt(0) lgkmcnt(0)
	buffer_store_dword v4, off, s[0:3], 0 offset:32
	buffer_store_dword v5, off, s[0:3], 0 offset:36
	;; [unrolled: 1-line block ×4, first 2 shown]
	flat_load_dwordx4 v[8:11], v[8:9] offset:256
	s_nop 0
	buffer_load_dword v32, off, s[0:3], 0 offset:176
	buffer_load_dword v33, off, s[0:3], 0 offset:208
	;; [unrolled: 1-line block ×16, first 2 shown]
	s_waitcnt vmcnt(0) lgkmcnt(0)
	buffer_store_dword v8, off, s[0:3], 0 offset:48
	buffer_store_dword v9, off, s[0:3], 0 offset:52
	;; [unrolled: 1-line block ×4, first 2 shown]
	flat_load_dwordx4 v[12:15], v[12:13] offset:256
	s_load_dwordx2 s[10:11], s[4:5], 0x1e8
	s_load_dword s16, s[4:5], 0x1f4
	s_load_dword s17, s[4:5], 0x200
	;; [unrolled: 1-line block ×3, first 2 shown]
	s_mov_b64 s[4:5], src_private_base
	v_dot4c_i32_i8_e32 v25, v0, v4
	v_dot4c_i32_i8_e32 v22, v0, v5
	;; [unrolled: 1-line block ×32, first 2 shown]
	v_mov_b32_e32 v0, 64
	v_mov_b32_e32 v2, 0x190
	;; [unrolled: 1-line block ×12, first 2 shown]
	buffer_store_dword v25, off, s[0:3], 0 offset:144
	buffer_store_dword v22, off, s[0:3], 0 offset:148
	;; [unrolled: 1-line block ×32, first 2 shown]
	s_waitcnt vmcnt(0) lgkmcnt(0)
	buffer_store_dword v12, off, s[0:3], 0 offset:16
	buffer_store_dword v13, off, s[0:3], 0 offset:20
	;; [unrolled: 1-line block ×4, first 2 shown]
	s_swappc_b64 s[30:31], s[6:7]
	buffer_load_dword v19, off, s[0:3], 0 offset:32
	buffer_load_dword v33, off, s[0:3], 0 offset:36
	;; [unrolled: 1-line block ×57, first 2 shown]
	s_mov_b32 s43, s39
	s_lshl_b32 s8, s35, 7
	s_waitcnt vmcnt(50)
	v_dot4c_i32_i8_e32 v25, v39, v19
	s_waitcnt vmcnt(49)
	v_dot4c_i32_i8_e32 v24, v39, v33
	;; [unrolled: 2-line block ×12, first 2 shown]
	buffer_store_dword v25, off, s[0:3], 0 offset:272
	buffer_store_dword v24, off, s[0:3], 0 offset:276
	;; [unrolled: 1-line block ×12, first 2 shown]
	s_waitcnt vmcnt(48)
	v_dot4c_i32_i8_e32 v0, v42, v19
	s_waitcnt vmcnt(47)
	v_dot4c_i32_i8_e32 v1, v42, v33
	v_add_u32_e32 v33, s18, v35
	v_add_u32_e32 v35, s15, v36
	s_waitcnt vmcnt(46)
	v_dot4c_i32_i8_e32 v2, v42, v37
	s_waitcnt vmcnt(45)
	v_dot4c_i32_i8_e32 v3, v42, v38
	;; [unrolled: 2-line block ×4, first 2 shown]
	v_mul_lo_u32 v36, v35, s34
	s_waitcnt vmcnt(39)
	v_dot4c_i32_i8_e32 v31, v39, v45
	buffer_store_dword v0, off, s[0:3], 0 offset:368
	s_waitcnt vmcnt(38)
	v_dot4c_i32_i8_e32 v32, v39, v46
	s_waitcnt vmcnt(37)
	v_dot4c_i32_i8_e32 v21, v40, v43
	;; [unrolled: 2-line block ×13, first 2 shown]
	buffer_store_dword v1, off, s[0:3], 0 offset:372
	buffer_store_dword v2, off, s[0:3], 0 offset:376
	;; [unrolled: 1-line block ×19, first 2 shown]
	v_mad_u64_u32 v[36:37], s[4:5], v33, s35, v[36:37]
	buffer_load_dword v19, v36, s[40:43], 0 offen
	v_cmp_gt_i32_e64 s[4:5], s78, v33
	v_cmp_gt_i32_e64 s[6:7], s33, v35
	s_and_b64 vcc, s[6:7], s[4:5]
	s_lshl_b32 s15, s35, 6
	v_add_u32_e32 v36, s15, v36
	v_add_u32_e32 v41, 64, v33
	s_add_i32 s9, s15, s34
	s_sub_i32 s18, s9, s8
	s_waitcnt vmcnt(0)
	v_cndmask_b32_e32 v19, 0, v19, vcc
	v_add_u16_sdwa v37, v19, v47 dst_sel:DWORD dst_unused:UNUSED_PAD src0_sel:BYTE_3 src1_sel:DWORD
	v_add_u16_sdwa v38, v19, v48 dst_sel:DWORD dst_unused:UNUSED_PAD src0_sel:WORD_1 src1_sel:DWORD
	v_add_u16_sdwa v39, v19, v49 dst_sel:DWORD dst_unused:UNUSED_PAD src0_sel:BYTE_1 src1_sel:DWORD
	v_add_u16_e32 v19, v19, v50
	v_max_i16_sdwa v40, sext(v19), v34 dst_sel:DWORD dst_unused:UNUSED_PAD src0_sel:BYTE_0 src1_sel:DWORD
	v_max_i16_sdwa v39, sext(v39), v34 dst_sel:DWORD dst_unused:UNUSED_PAD src0_sel:BYTE_0 src1_sel:DWORD
	;; [unrolled: 1-line block ×4, first 2 shown]
	buffer_store_dword v40, off, s[0:3], 0 offset:144
	buffer_store_dword v37, off, s[0:3], 0 offset:156
	;; [unrolled: 1-line block ×4, first 2 shown]
	buffer_load_dword v19, v36, s[40:43], 0 offen
	v_cmp_gt_i32_e32 vcc, s78, v41
	s_and_b64 s[6:7], s[6:7], vcc
	v_add_u32_e32 v36, s18, v36
	s_waitcnt vmcnt(0)
	v_cndmask_b32_e64 v19, 0, v19, s[6:7]
	v_add_u16_e32 v42, v19, v52
	v_add_u16_sdwa v43, v19, v53 dst_sel:DWORD dst_unused:UNUSED_PAD src0_sel:BYTE_3 src1_sel:DWORD
	v_add_u16_sdwa v44, v19, v58 dst_sel:DWORD dst_unused:UNUSED_PAD src0_sel:WORD_1 src1_sel:DWORD
	v_add_u16_sdwa v19, v19, v51 dst_sel:DWORD dst_unused:UNUSED_PAD src0_sel:BYTE_1 src1_sel:DWORD
	v_max_i16_sdwa v42, sext(v42), v34 dst_sel:DWORD dst_unused:UNUSED_PAD src0_sel:BYTE_0 src1_sel:DWORD
	v_max_i16_sdwa v19, sext(v19), v34 dst_sel:DWORD dst_unused:UNUSED_PAD src0_sel:BYTE_0 src1_sel:DWORD
	;; [unrolled: 1-line block ×4, first 2 shown]
	buffer_store_dword v42, off, s[0:3], 0 offset:160
	buffer_store_dword v43, off, s[0:3], 0 offset:172
	;; [unrolled: 1-line block ×4, first 2 shown]
	buffer_load_dword v19, v36, s[40:43], 0 offen
	v_or_b32_e32 v42, 1, v35
	v_cmp_gt_i32_e64 s[6:7], s33, v42
	s_and_b64 s[8:9], s[6:7], s[4:5]
	v_add_u32_e32 v36, s15, v36
	s_and_b64 s[6:7], s[6:7], vcc
	s_waitcnt vmcnt(0)
	v_cndmask_b32_e64 v19, 0, v19, s[8:9]
	v_add_u16_e32 v43, v19, v54
	v_add_u16_sdwa v44, v19, v57 dst_sel:DWORD dst_unused:UNUSED_PAD src0_sel:BYTE_3 src1_sel:DWORD
	v_add_u16_sdwa v45, v19, v56 dst_sel:DWORD dst_unused:UNUSED_PAD src0_sel:WORD_1 src1_sel:DWORD
	v_add_u16_sdwa v19, v19, v55 dst_sel:DWORD dst_unused:UNUSED_PAD src0_sel:BYTE_1 src1_sel:DWORD
	v_max_i16_sdwa v43, sext(v43), v34 dst_sel:DWORD dst_unused:UNUSED_PAD src0_sel:BYTE_0 src1_sel:DWORD
	v_max_i16_sdwa v19, sext(v19), v34 dst_sel:DWORD dst_unused:UNUSED_PAD src0_sel:BYTE_0 src1_sel:DWORD
	;; [unrolled: 1-line block ×4, first 2 shown]
	buffer_store_dword v43, off, s[0:3], 0 offset:176
	buffer_store_dword v44, off, s[0:3], 0 offset:188
	;; [unrolled: 1-line block ×4, first 2 shown]
	buffer_load_dword v19, v36, s[40:43], 0 offen
	s_nop 0
	buffer_load_dword v43, off, s[0:3], 0 offset:192
	buffer_load_dword v44, off, s[0:3], 0 offset:204
	;; [unrolled: 1-line block ×8, first 2 shown]
	v_add_u32_e32 v36, s18, v36
	s_waitcnt vmcnt(8)
	v_cndmask_b32_e64 v19, 0, v19, s[6:7]
	s_waitcnt vmcnt(7)
	v_add_u16_e32 v43, v19, v43
	s_waitcnt vmcnt(6)
	v_add_u16_sdwa v44, v19, v44 dst_sel:DWORD dst_unused:UNUSED_PAD src0_sel:BYTE_3 src1_sel:DWORD
	s_waitcnt vmcnt(5)
	v_add_u16_sdwa v45, v19, v45 dst_sel:DWORD dst_unused:UNUSED_PAD src0_sel:WORD_1 src1_sel:DWORD
	s_waitcnt vmcnt(4)
	v_add_u16_sdwa v19, v19, v46 dst_sel:DWORD dst_unused:UNUSED_PAD src0_sel:BYTE_1 src1_sel:DWORD
	v_max_i16_sdwa v43, sext(v43), v34 dst_sel:DWORD dst_unused:UNUSED_PAD src0_sel:BYTE_0 src1_sel:DWORD
	v_max_i16_sdwa v19, sext(v19), v34 dst_sel:DWORD dst_unused:UNUSED_PAD src0_sel:BYTE_0 src1_sel:DWORD
	;; [unrolled: 1-line block ×4, first 2 shown]
	buffer_store_dword v43, off, s[0:3], 0 offset:192
	buffer_store_dword v44, off, s[0:3], 0 offset:204
	;; [unrolled: 1-line block ×4, first 2 shown]
	buffer_load_dword v19, v36, s[40:43], 0 offen
	v_or_b32_e32 v43, 2, v35
	v_cmp_gt_i32_e64 s[6:7], s33, v43
	s_and_b64 s[8:9], s[6:7], s[4:5]
	v_add_u32_e32 v36, s15, v36
	s_and_b64 s[6:7], s[6:7], vcc
	s_waitcnt vmcnt(0)
	v_cndmask_b32_e64 v19, 0, v19, s[8:9]
	v_add_u16_e32 v44, v19, v47
	v_add_u16_sdwa v45, v19, v50 dst_sel:DWORD dst_unused:UNUSED_PAD src0_sel:BYTE_3 src1_sel:DWORD
	v_add_u16_sdwa v46, v19, v49 dst_sel:DWORD dst_unused:UNUSED_PAD src0_sel:WORD_1 src1_sel:DWORD
	v_add_u16_sdwa v19, v19, v48 dst_sel:DWORD dst_unused:UNUSED_PAD src0_sel:BYTE_1 src1_sel:DWORD
	v_max_i16_sdwa v44, sext(v44), v34 dst_sel:DWORD dst_unused:UNUSED_PAD src0_sel:BYTE_0 src1_sel:DWORD
	v_max_i16_sdwa v19, sext(v19), v34 dst_sel:DWORD dst_unused:UNUSED_PAD src0_sel:BYTE_0 src1_sel:DWORD
	;; [unrolled: 1-line block ×4, first 2 shown]
	buffer_store_dword v44, off, s[0:3], 0 offset:208
	buffer_store_dword v45, off, s[0:3], 0 offset:220
	;; [unrolled: 1-line block ×4, first 2 shown]
	buffer_load_dword v19, v36, s[40:43], 0 offen
	s_nop 0
	buffer_load_dword v44, off, s[0:3], 0 offset:224
	buffer_load_dword v45, off, s[0:3], 0 offset:236
	;; [unrolled: 1-line block ×8, first 2 shown]
	v_add_u32_e32 v36, s18, v36
	s_waitcnt vmcnt(8)
	v_cndmask_b32_e64 v19, 0, v19, s[6:7]
	s_waitcnt vmcnt(7)
	v_add_u16_e32 v44, v19, v44
	s_waitcnt vmcnt(6)
	v_add_u16_sdwa v45, v19, v45 dst_sel:DWORD dst_unused:UNUSED_PAD src0_sel:BYTE_3 src1_sel:DWORD
	s_waitcnt vmcnt(5)
	v_add_u16_sdwa v46, v19, v46 dst_sel:DWORD dst_unused:UNUSED_PAD src0_sel:WORD_1 src1_sel:DWORD
	s_waitcnt vmcnt(4)
	v_add_u16_sdwa v19, v19, v47 dst_sel:DWORD dst_unused:UNUSED_PAD src0_sel:BYTE_1 src1_sel:DWORD
	v_max_i16_sdwa v44, sext(v44), v34 dst_sel:DWORD dst_unused:UNUSED_PAD src0_sel:BYTE_0 src1_sel:DWORD
	v_max_i16_sdwa v19, sext(v19), v34 dst_sel:DWORD dst_unused:UNUSED_PAD src0_sel:BYTE_0 src1_sel:DWORD
	;; [unrolled: 1-line block ×4, first 2 shown]
	buffer_store_dword v44, off, s[0:3], 0 offset:224
	buffer_store_dword v45, off, s[0:3], 0 offset:236
	;; [unrolled: 1-line block ×4, first 2 shown]
	buffer_load_dword v19, v36, s[40:43], 0 offen
	v_or_b32_e32 v44, 3, v35
	v_cmp_gt_i32_e64 s[6:7], s33, v44
	s_and_b64 s[8:9], s[6:7], s[4:5]
	v_add_u32_e32 v36, s15, v36
	s_and_b64 s[6:7], s[6:7], vcc
	s_waitcnt vmcnt(0)
	v_cndmask_b32_e64 v19, 0, v19, s[8:9]
	v_add_u16_e32 v45, v19, v48
	v_add_u16_sdwa v46, v19, v51 dst_sel:DWORD dst_unused:UNUSED_PAD src0_sel:BYTE_3 src1_sel:DWORD
	v_add_u16_sdwa v47, v19, v50 dst_sel:DWORD dst_unused:UNUSED_PAD src0_sel:WORD_1 src1_sel:DWORD
	v_add_u16_sdwa v19, v19, v49 dst_sel:DWORD dst_unused:UNUSED_PAD src0_sel:BYTE_1 src1_sel:DWORD
	v_max_i16_sdwa v45, sext(v45), v34 dst_sel:DWORD dst_unused:UNUSED_PAD src0_sel:BYTE_0 src1_sel:DWORD
	v_max_i16_sdwa v19, sext(v19), v34 dst_sel:DWORD dst_unused:UNUSED_PAD src0_sel:BYTE_0 src1_sel:DWORD
	;; [unrolled: 1-line block ×4, first 2 shown]
	buffer_store_dword v45, off, s[0:3], 0 offset:240
	buffer_store_dword v46, off, s[0:3], 0 offset:252
	;; [unrolled: 1-line block ×4, first 2 shown]
	buffer_load_dword v19, v36, s[40:43], 0 offen
	s_nop 0
	buffer_load_dword v45, off, s[0:3], 0 offset:256
	buffer_load_dword v46, off, s[0:3], 0 offset:264
	;; [unrolled: 1-line block ×3, first 2 shown]
	s_mul_i32 s8, s34, 60
	s_add_i32 s8, s18, s8
	v_add_u32_e32 v36, s8, v36
	s_waitcnt vmcnt(3)
	v_cndmask_b32_e64 v19, 0, v19, s[6:7]
	s_waitcnt vmcnt(2)
	v_add_u16_e32 v45, v19, v45
	v_add_u16_sdwa v48, v19, v59 dst_sel:DWORD dst_unused:UNUSED_PAD src0_sel:BYTE_3 src1_sel:DWORD
	s_waitcnt vmcnt(1)
	v_add_u16_sdwa v46, v19, v46 dst_sel:DWORD dst_unused:UNUSED_PAD src0_sel:WORD_1 src1_sel:DWORD
	s_waitcnt vmcnt(0)
	v_add_u16_sdwa v19, v19, v47 dst_sel:DWORD dst_unused:UNUSED_PAD src0_sel:BYTE_1 src1_sel:DWORD
	v_max_i16_sdwa v45, sext(v45), v34 dst_sel:DWORD dst_unused:UNUSED_PAD src0_sel:BYTE_0 src1_sel:DWORD
	v_max_i16_sdwa v19, sext(v19), v34 dst_sel:DWORD dst_unused:UNUSED_PAD src0_sel:BYTE_0 src1_sel:DWORD
	;; [unrolled: 1-line block ×4, first 2 shown]
	buffer_store_dword v45, off, s[0:3], 0 offset:256
	buffer_store_dword v47, off, s[0:3], 0 offset:268
	;; [unrolled: 1-line block ×4, first 2 shown]
	buffer_load_dword v45, v36, s[40:43], 0 offen
	v_add_u32_e32 v19, 64, v35
	v_cmp_gt_i32_e64 s[6:7], s33, v19
	s_and_b64 s[8:9], s[6:7], s[4:5]
	v_add_u32_e32 v36, s15, v36
	s_and_b64 s[6:7], s[6:7], vcc
	s_waitcnt vmcnt(0)
	v_cndmask_b32_e64 v45, 0, v45, s[8:9]
	v_add_u16_e32 v25, v45, v25
	v_add_u16_sdwa v27, v45, v27 dst_sel:DWORD dst_unused:UNUSED_PAD src0_sel:BYTE_3 src1_sel:DWORD
	v_add_u16_sdwa v26, v45, v26 dst_sel:DWORD dst_unused:UNUSED_PAD src0_sel:WORD_1 src1_sel:DWORD
	v_add_u16_sdwa v24, v45, v24 dst_sel:DWORD dst_unused:UNUSED_PAD src0_sel:BYTE_1 src1_sel:DWORD
	v_max_i16_sdwa v25, sext(v25), v34 dst_sel:DWORD dst_unused:UNUSED_PAD src0_sel:BYTE_0 src1_sel:DWORD
	v_max_i16_sdwa v24, sext(v24), v34 dst_sel:DWORD dst_unused:UNUSED_PAD src0_sel:BYTE_0 src1_sel:DWORD
	;; [unrolled: 1-line block ×4, first 2 shown]
	buffer_store_dword v25, off, s[0:3], 0 offset:272
	buffer_store_dword v27, off, s[0:3], 0 offset:284
	;; [unrolled: 1-line block ×4, first 2 shown]
	buffer_load_dword v24, v36, s[40:43], 0 offen
	v_add_u32_e32 v25, s18, v36
	s_waitcnt vmcnt(0)
	v_cndmask_b32_e64 v24, 0, v24, s[6:7]
	v_add_u16_e32 v26, v24, v29
	v_add_u16_sdwa v27, v24, v32 dst_sel:DWORD dst_unused:UNUSED_PAD src0_sel:BYTE_3 src1_sel:DWORD
	v_add_u16_sdwa v29, v24, v31 dst_sel:DWORD dst_unused:UNUSED_PAD src0_sel:WORD_1 src1_sel:DWORD
	v_add_u16_sdwa v24, v24, v30 dst_sel:DWORD dst_unused:UNUSED_PAD src0_sel:BYTE_1 src1_sel:DWORD
	v_max_i16_sdwa v26, sext(v26), v34 dst_sel:DWORD dst_unused:UNUSED_PAD src0_sel:BYTE_0 src1_sel:DWORD
	v_max_i16_sdwa v24, sext(v24), v34 dst_sel:DWORD dst_unused:UNUSED_PAD src0_sel:BYTE_0 src1_sel:DWORD
	;; [unrolled: 1-line block ×4, first 2 shown]
	buffer_store_dword v26, off, s[0:3], 0 offset:288
	buffer_store_dword v27, off, s[0:3], 0 offset:300
	;; [unrolled: 1-line block ×4, first 2 shown]
	buffer_load_dword v26, v25, s[40:43], 0 offen
	v_add_u32_e32 v24, 0x41, v35
	v_cmp_gt_i32_e64 s[6:7], s33, v24
	s_and_b64 s[8:9], s[6:7], s[4:5]
	v_add_u32_e32 v25, s15, v25
	s_and_b64 s[6:7], s[6:7], vcc
	s_waitcnt vmcnt(0)
	v_cndmask_b32_e64 v26, 0, v26, s[8:9]
	v_add_u16_e32 v13, v26, v13
	v_add_u16_sdwa v20, v26, v20 dst_sel:DWORD dst_unused:UNUSED_PAD src0_sel:BYTE_3 src1_sel:DWORD
	v_add_u16_sdwa v18, v26, v18 dst_sel:DWORD dst_unused:UNUSED_PAD src0_sel:WORD_1 src1_sel:DWORD
	v_add_u16_sdwa v12, v26, v12 dst_sel:DWORD dst_unused:UNUSED_PAD src0_sel:BYTE_1 src1_sel:DWORD
	v_max_i16_sdwa v13, sext(v13), v34 dst_sel:DWORD dst_unused:UNUSED_PAD src0_sel:BYTE_0 src1_sel:DWORD
	v_max_i16_sdwa v12, sext(v12), v34 dst_sel:DWORD dst_unused:UNUSED_PAD src0_sel:BYTE_0 src1_sel:DWORD
	;; [unrolled: 1-line block ×4, first 2 shown]
	buffer_store_dword v13, off, s[0:3], 0 offset:304
	buffer_store_dword v20, off, s[0:3], 0 offset:316
	;; [unrolled: 1-line block ×4, first 2 shown]
	buffer_load_dword v12, v25, s[40:43], 0 offen
	v_add_u32_e32 v13, s18, v25
	s_waitcnt vmcnt(0)
	v_cndmask_b32_e64 v12, 0, v12, s[6:7]
	v_add_u16_e32 v18, v12, v21
	v_add_u16_sdwa v20, v12, v28 dst_sel:DWORD dst_unused:UNUSED_PAD src0_sel:BYTE_3 src1_sel:DWORD
	v_add_u16_sdwa v21, v12, v23 dst_sel:DWORD dst_unused:UNUSED_PAD src0_sel:WORD_1 src1_sel:DWORD
	v_add_u16_sdwa v12, v12, v22 dst_sel:DWORD dst_unused:UNUSED_PAD src0_sel:BYTE_1 src1_sel:DWORD
	v_max_i16_sdwa v18, sext(v18), v34 dst_sel:DWORD dst_unused:UNUSED_PAD src0_sel:BYTE_0 src1_sel:DWORD
	v_max_i16_sdwa v12, sext(v12), v34 dst_sel:DWORD dst_unused:UNUSED_PAD src0_sel:BYTE_0 src1_sel:DWORD
	;; [unrolled: 1-line block ×4, first 2 shown]
	buffer_store_dword v18, off, s[0:3], 0 offset:320
	buffer_store_dword v20, off, s[0:3], 0 offset:332
	;; [unrolled: 1-line block ×4, first 2 shown]
	buffer_load_dword v12, v13, s[40:43], 0 offen
	v_add_u32_e32 v18, 0x42, v35
	v_cmp_gt_i32_e64 s[6:7], s33, v18
	s_and_b64 s[8:9], s[6:7], s[4:5]
	v_add_u32_e32 v13, s15, v13
	s_and_b64 s[6:7], s[6:7], vcc
	s_waitcnt vmcnt(0)
	v_cndmask_b32_e64 v12, 0, v12, s[8:9]
	v_add_u16_e32 v8, v12, v8
	v_add_u16_sdwa v11, v12, v11 dst_sel:DWORD dst_unused:UNUSED_PAD src0_sel:BYTE_3 src1_sel:DWORD
	v_add_u16_sdwa v10, v12, v10 dst_sel:DWORD dst_unused:UNUSED_PAD src0_sel:WORD_1 src1_sel:DWORD
	v_add_u16_sdwa v9, v12, v9 dst_sel:DWORD dst_unused:UNUSED_PAD src0_sel:BYTE_1 src1_sel:DWORD
	v_max_i16_sdwa v8, sext(v8), v34 dst_sel:DWORD dst_unused:UNUSED_PAD src0_sel:BYTE_0 src1_sel:DWORD
	v_max_i16_sdwa v9, sext(v9), v34 dst_sel:DWORD dst_unused:UNUSED_PAD src0_sel:BYTE_0 src1_sel:DWORD
	;; [unrolled: 1-line block ×4, first 2 shown]
	buffer_store_dword v8, off, s[0:3], 0 offset:336
	buffer_store_dword v11, off, s[0:3], 0 offset:348
	;; [unrolled: 1-line block ×4, first 2 shown]
	buffer_load_dword v8, v13, s[40:43], 0 offen
	v_add_u32_e32 v9, s18, v13
	v_cmp_gt_i32_e64 s[8:9], s16, v35
	s_waitcnt vmcnt(0)
	v_cndmask_b32_e64 v8, 0, v8, s[6:7]
	v_add_u16_e32 v10, v8, v14
	v_add_u16_sdwa v11, v8, v17 dst_sel:DWORD dst_unused:UNUSED_PAD src0_sel:BYTE_3 src1_sel:DWORD
	v_add_u16_sdwa v12, v8, v16 dst_sel:DWORD dst_unused:UNUSED_PAD src0_sel:WORD_1 src1_sel:DWORD
	v_add_u16_sdwa v8, v8, v15 dst_sel:DWORD dst_unused:UNUSED_PAD src0_sel:BYTE_1 src1_sel:DWORD
	v_max_i16_sdwa v10, sext(v10), v34 dst_sel:DWORD dst_unused:UNUSED_PAD src0_sel:BYTE_0 src1_sel:DWORD
	v_max_i16_sdwa v8, sext(v8), v34 dst_sel:DWORD dst_unused:UNUSED_PAD src0_sel:BYTE_0 src1_sel:DWORD
	;; [unrolled: 1-line block ×4, first 2 shown]
	buffer_store_dword v10, off, s[0:3], 0 offset:352
	buffer_store_dword v11, off, s[0:3], 0 offset:364
	;; [unrolled: 1-line block ×4, first 2 shown]
	buffer_load_dword v8, v9, s[40:43], 0 offen
	v_add_u32_e32 v10, 0x43, v35
	v_cmp_gt_i32_e64 s[6:7], s33, v10
	s_and_b64 s[4:5], s[6:7], s[4:5]
	v_add_u32_e32 v9, s15, v9
	s_and_b64 vcc, s[6:7], vcc
	s_mov_b32 s15, s39
	s_waitcnt vmcnt(0)
	v_cndmask_b32_e64 v8, 0, v8, s[4:5]
	v_add_u16_e32 v0, v8, v0
	v_add_u16_sdwa v3, v8, v3 dst_sel:DWORD dst_unused:UNUSED_PAD src0_sel:BYTE_3 src1_sel:DWORD
	v_add_u16_sdwa v2, v8, v2 dst_sel:DWORD dst_unused:UNUSED_PAD src0_sel:WORD_1 src1_sel:DWORD
	v_add_u16_sdwa v1, v8, v1 dst_sel:DWORD dst_unused:UNUSED_PAD src0_sel:BYTE_1 src1_sel:DWORD
	v_max_i16_sdwa v0, sext(v0), v34 dst_sel:DWORD dst_unused:UNUSED_PAD src0_sel:BYTE_0 src1_sel:DWORD
	v_max_i16_sdwa v1, sext(v1), v34 dst_sel:DWORD dst_unused:UNUSED_PAD src0_sel:BYTE_0 src1_sel:DWORD
	;; [unrolled: 1-line block ×4, first 2 shown]
	buffer_store_dword v0, off, s[0:3], 0 offset:368
	buffer_store_dword v3, off, s[0:3], 0 offset:380
	;; [unrolled: 1-line block ×4, first 2 shown]
	buffer_load_dword v2, v9, s[40:43], 0 offen
	v_mul_lo_u32 v0, v35, s10
	v_cmp_gt_i32_e64 s[4:5], s17, v33
	v_mad_u64_u32 v[0:1], s[18:19], v33, s11, v[0:1]
	v_bfrev_b32_e32 v3, 1
	s_and_b64 s[18:19], s[8:9], s[4:5]
	v_lshlrev_b16_e32 v8, 8, v39
	v_lshlrev_b16_e32 v9, 8, v37
	v_cndmask_b32_e64 v1, v3, 0, s[18:19]
	v_or_b32_e32 v8, v40, v8
	v_or_b32_sdwa v9, v38, v9 dst_sel:WORD_1 dst_unused:UNUSED_PAD src0_sel:DWORD src1_sel:DWORD
	v_add_u32_e32 v1, v1, v0
	v_or_b32_sdwa v8, v8, v9 dst_sel:DWORD dst_unused:UNUSED_PAD src0_sel:WORD_0 src1_sel:DWORD
	s_lshl_b32 s19, s11, 6
	s_mov_b32 s18, 0xc0c0500
	s_waitcnt vmcnt(0)
	v_cndmask_b32_e32 v2, 0, v2, vcc
	v_add_u16_e32 v4, v2, v4
	v_add_u16_sdwa v7, v2, v7 dst_sel:DWORD dst_unused:UNUSED_PAD src0_sel:BYTE_3 src1_sel:DWORD
	v_add_u16_sdwa v6, v2, v6 dst_sel:DWORD dst_unused:UNUSED_PAD src0_sel:WORD_1 src1_sel:DWORD
	v_add_u16_sdwa v2, v2, v5 dst_sel:DWORD dst_unused:UNUSED_PAD src0_sel:BYTE_1 src1_sel:DWORD
	v_max_i16_sdwa v4, sext(v4), v34 dst_sel:DWORD dst_unused:UNUSED_PAD src0_sel:BYTE_0 src1_sel:DWORD
	v_max_i16_sdwa v2, sext(v2), v34 dst_sel:DWORD dst_unused:UNUSED_PAD src0_sel:BYTE_0 src1_sel:DWORD
	;; [unrolled: 1-line block ×4, first 2 shown]
	buffer_store_dword v4, off, s[0:3], 0 offset:384
	buffer_store_dword v6, off, s[0:3], 0 offset:396
	;; [unrolled: 1-line block ×4, first 2 shown]
	buffer_store_dword v8, v1, s[12:15], 0 offen
	buffer_load_dword v1, off, s[0:3], 0 offset:164
	s_nop 0
	buffer_load_dword v2, off, s[0:3], 0 offset:168
	buffer_load_dword v4, off, s[0:3], 0 offset:172
	;; [unrolled: 1-line block ×3, first 2 shown]
	v_cmp_gt_i32_e32 vcc, s17, v41
	s_and_b64 s[6:7], s[8:9], vcc
	v_add_u32_e32 v6, s19, v0
	v_cndmask_b32_e64 v7, v3, 0, s[6:7]
	v_add_u32_e32 v7, v7, v6
	v_cmp_gt_i32_e64 s[6:7], s16, v42
	s_and_b64 s[8:9], s[6:7], vcc
	v_add_u32_e32 v6, s10, v6
	s_and_b64 s[6:7], s[6:7], s[4:5]
	v_add_u32_e32 v0, s10, v0
	s_lshl_b32 s17, s10, 6
	s_waitcnt vmcnt(3)
	v_lshlrev_b32_e32 v1, 8, v1
	s_waitcnt vmcnt(2)
	v_lshlrev_b32_e32 v2, 16, v2
	;; [unrolled: 2-line block ×3, first 2 shown]
	v_and_b32_e32 v2, 0xff0000, v2
	s_waitcnt vmcnt(0)
	v_perm_b32 v1, v1, v5, s18
	v_or3_b32 v1, v1, v2, v4
	buffer_store_dword v1, v7, s[12:15], 0 offen
	buffer_load_dword v1, off, s[0:3], 0 offset:196
	s_nop 0
	buffer_load_dword v2, off, s[0:3], 0 offset:200
	buffer_load_dword v4, off, s[0:3], 0 offset:204
	;; [unrolled: 1-line block ×3, first 2 shown]
	v_cndmask_b32_e64 v7, v3, 0, s[8:9]
	v_add_u32_e32 v7, v7, v6
	v_add_u32_e32 v6, s10, v6
	s_waitcnt vmcnt(3)
	v_lshlrev_b32_e32 v1, 8, v1
	s_waitcnt vmcnt(2)
	v_lshlrev_b32_e32 v2, 16, v2
	;; [unrolled: 2-line block ×3, first 2 shown]
	v_and_b32_e32 v2, 0xff0000, v2
	s_waitcnt vmcnt(0)
	v_perm_b32 v1, v1, v5, s18
	v_or3_b32 v1, v1, v2, v4
	buffer_store_dword v1, v7, s[12:15], 0 offen
	buffer_load_dword v1, off, s[0:3], 0 offset:180
	s_nop 0
	buffer_load_dword v2, off, s[0:3], 0 offset:184
	buffer_load_dword v4, off, s[0:3], 0 offset:188
	;; [unrolled: 1-line block ×3, first 2 shown]
	v_cndmask_b32_e64 v7, v3, 0, s[6:7]
	v_add_u32_e32 v7, v0, v7
	v_cmp_gt_i32_e64 s[6:7], s16, v43
	s_and_b64 s[8:9], s[6:7], s[4:5]
	s_and_b64 s[6:7], s[6:7], vcc
	s_waitcnt vmcnt(3)
	v_lshlrev_b32_e32 v1, 8, v1
	s_waitcnt vmcnt(2)
	v_lshlrev_b32_e32 v2, 16, v2
	;; [unrolled: 2-line block ×3, first 2 shown]
	v_and_b32_e32 v2, 0xff0000, v2
	s_waitcnt vmcnt(0)
	v_perm_b32 v1, v1, v5, s18
	v_or3_b32 v1, v1, v2, v4
	buffer_store_dword v1, v7, s[12:15], 0 offen
	buffer_load_dword v1, off, s[0:3], 0 offset:212
	s_nop 0
	buffer_load_dword v2, off, s[0:3], 0 offset:216
	buffer_load_dword v4, off, s[0:3], 0 offset:220
	;; [unrolled: 1-line block ×3, first 2 shown]
	v_cndmask_b32_e64 v7, v3, 0, s[8:9]
	v_add3_u32 v0, v7, s10, v0
	s_waitcnt vmcnt(3)
	v_lshlrev_b32_e32 v1, 8, v1
	s_waitcnt vmcnt(2)
	v_lshlrev_b32_e32 v2, 16, v2
	;; [unrolled: 2-line block ×3, first 2 shown]
	v_and_b32_e32 v2, 0xff0000, v2
	s_waitcnt vmcnt(0)
	v_perm_b32 v1, v1, v5, s18
	v_or3_b32 v1, v1, v2, v4
	buffer_store_dword v1, v0, s[12:15], 0 offen
	buffer_load_dword v0, off, s[0:3], 0 offset:228
	s_nop 0
	buffer_load_dword v1, off, s[0:3], 0 offset:232
	buffer_load_dword v2, off, s[0:3], 0 offset:236
	;; [unrolled: 1-line block ×3, first 2 shown]
	v_cndmask_b32_e64 v5, v3, 0, s[6:7]
	v_add_u32_e32 v5, v6, v5
	v_cmp_gt_i32_e64 s[6:7], s16, v44
	s_and_b64 s[8:9], s[6:7], vcc
	v_add_u32_e32 v6, s10, v6
	s_and_b64 s[6:7], s[6:7], s[4:5]
	s_waitcnt vmcnt(3)
	v_lshlrev_b32_e32 v0, 8, v0
	s_waitcnt vmcnt(2)
	v_lshlrev_b32_e32 v1, 16, v1
	s_waitcnt vmcnt(1)
	v_lshlrev_b32_e32 v2, 24, v2
	v_and_b32_e32 v1, 0xff0000, v1
	s_waitcnt vmcnt(0)
	v_perm_b32 v0, v0, v4, s18
	v_or3_b32 v0, v0, v1, v2
	buffer_store_dword v0, v5, s[12:15], 0 offen
	buffer_load_dword v0, off, s[0:3], 0 offset:260
	s_nop 0
	buffer_load_dword v1, off, s[0:3], 0 offset:264
	buffer_load_dword v2, off, s[0:3], 0 offset:268
	;; [unrolled: 1-line block ×3, first 2 shown]
	v_cndmask_b32_e64 v5, v3, 0, s[8:9]
	v_add_u32_e32 v5, v6, v5
	v_subrev_u32_e32 v6, s19, v6
	s_waitcnt vmcnt(3)
	v_lshlrev_b32_e32 v0, 8, v0
	s_waitcnt vmcnt(2)
	v_lshlrev_b32_e32 v1, 16, v1
	;; [unrolled: 2-line block ×3, first 2 shown]
	v_and_b32_e32 v1, 0xff0000, v1
	s_waitcnt vmcnt(0)
	v_perm_b32 v0, v0, v4, s18
	v_or3_b32 v0, v0, v1, v2
	buffer_store_dword v0, v5, s[12:15], 0 offen
	buffer_load_dword v0, off, s[0:3], 0 offset:244
	s_nop 0
	buffer_load_dword v1, off, s[0:3], 0 offset:248
	buffer_load_dword v2, off, s[0:3], 0 offset:252
	;; [unrolled: 1-line block ×3, first 2 shown]
	v_cndmask_b32_e64 v5, v3, 0, s[6:7]
	v_add_u32_e32 v5, v6, v5
	v_cmp_gt_i32_e64 s[6:7], s16, v10
	s_and_b64 s[8:9], s[6:7], s[4:5]
	s_and_b64 s[6:7], s[6:7], vcc
	s_waitcnt vmcnt(3)
	v_lshlrev_b32_e32 v0, 8, v0
	s_waitcnt vmcnt(2)
	v_lshlrev_b32_e32 v1, 16, v1
	;; [unrolled: 2-line block ×3, first 2 shown]
	v_and_b32_e32 v1, 0xff0000, v1
	s_waitcnt vmcnt(0)
	v_perm_b32 v0, v0, v4, s18
	v_or3_b32 v0, v0, v1, v2
	buffer_store_dword v0, v5, s[12:15], 0 offen
	buffer_load_dword v0, off, s[0:3], 0 offset:372
	s_nop 0
	buffer_load_dword v1, off, s[0:3], 0 offset:376
	buffer_load_dword v2, off, s[0:3], 0 offset:380
	;; [unrolled: 1-line block ×3, first 2 shown]
	v_cndmask_b32_e64 v5, v3, 0, s[8:9]
	v_add3_u32 v5, v5, s17, v6
	s_add_i32 s8, s11, s10
	v_lshl_add_u32 v6, s8, 6, v6
	s_waitcnt vmcnt(3)
	v_lshlrev_b32_e32 v0, 8, v0
	s_waitcnt vmcnt(2)
	v_lshlrev_b32_e32 v1, 16, v1
	;; [unrolled: 2-line block ×3, first 2 shown]
	v_and_b32_e32 v1, 0xff0000, v1
	s_waitcnt vmcnt(0)
	v_perm_b32 v0, v0, v4, s18
	v_or3_b32 v0, v0, v1, v2
	buffer_store_dword v0, v5, s[12:15], 0 offen
	buffer_load_dword v0, off, s[0:3], 0 offset:388
	s_nop 0
	buffer_load_dword v1, off, s[0:3], 0 offset:392
	buffer_load_dword v2, off, s[0:3], 0 offset:396
	;; [unrolled: 1-line block ×3, first 2 shown]
	v_cndmask_b32_e64 v5, v3, 0, s[6:7]
	v_add_u32_e32 v5, v6, v5
	v_cmp_ge_i32_e64 s[6:7], s16, v10
	s_and_b64 s[6:7], s[6:7], vcc
	v_subrev_u32_e32 v6, s10, v6
	s_waitcnt vmcnt(3)
	v_lshlrev_b32_e32 v0, 8, v0
	s_waitcnt vmcnt(2)
	v_lshlrev_b32_e32 v1, 16, v1
	;; [unrolled: 2-line block ×3, first 2 shown]
	v_and_b32_e32 v1, 0xff0000, v1
	s_waitcnt vmcnt(0)
	v_perm_b32 v0, v0, v4, s18
	v_or3_b32 v0, v0, v1, v2
	buffer_store_dword v0, v5, s[12:15], 0 offen
	buffer_load_dword v0, off, s[0:3], 0 offset:356
	s_nop 0
	buffer_load_dword v1, off, s[0:3], 0 offset:360
	buffer_load_dword v2, off, s[0:3], 0 offset:364
	;; [unrolled: 1-line block ×3, first 2 shown]
	v_cndmask_b32_e64 v5, v3, 0, s[6:7]
	v_add_u32_e32 v5, v6, v5
	v_cmp_gt_i32_e64 s[6:7], s16, v18
	s_and_b64 s[6:7], s[6:7], s[4:5]
	v_subrev_u32_e32 v6, s19, v6
	s_waitcnt vmcnt(3)
	v_lshlrev_b32_e32 v0, 8, v0
	s_waitcnt vmcnt(2)
	v_lshlrev_b32_e32 v1, 16, v1
	;; [unrolled: 2-line block ×3, first 2 shown]
	v_and_b32_e32 v1, 0xff0000, v1
	s_waitcnt vmcnt(0)
	v_perm_b32 v0, v0, v4, s18
	v_or3_b32 v0, v0, v1, v2
	buffer_store_dword v0, v5, s[12:15], 0 offen
	buffer_load_dword v0, off, s[0:3], 0 offset:340
	s_nop 0
	buffer_load_dword v1, off, s[0:3], 0 offset:344
	buffer_load_dword v2, off, s[0:3], 0 offset:348
	;; [unrolled: 1-line block ×3, first 2 shown]
	v_cndmask_b32_e64 v5, v3, 0, s[6:7]
	v_add_u32_e32 v5, v6, v5
	v_cmp_ge_i32_e64 s[6:7], s16, v18
	s_and_b64 s[6:7], s[6:7], s[4:5]
	v_subrev_u32_e32 v6, s10, v6
	s_waitcnt vmcnt(3)
	v_lshlrev_b32_e32 v0, 8, v0
	s_waitcnt vmcnt(2)
	v_lshlrev_b32_e32 v1, 16, v1
	;; [unrolled: 2-line block ×3, first 2 shown]
	v_and_b32_e32 v1, 0xff0000, v1
	s_waitcnt vmcnt(0)
	v_perm_b32 v0, v0, v4, s18
	v_or3_b32 v0, v0, v1, v2
	buffer_store_dword v0, v5, s[12:15], 0 offen
	buffer_load_dword v0, off, s[0:3], 0 offset:308
	s_nop 0
	buffer_load_dword v1, off, s[0:3], 0 offset:312
	buffer_load_dword v2, off, s[0:3], 0 offset:316
	;; [unrolled: 1-line block ×3, first 2 shown]
	v_cndmask_b32_e64 v5, v3, 0, s[6:7]
	v_add_u32_e32 v5, v6, v5
	v_cmp_gt_i32_e64 s[6:7], s16, v24
	s_and_b64 s[6:7], s[6:7], vcc
	v_add_u32_e32 v6, s19, v6
	s_waitcnt vmcnt(3)
	v_lshlrev_b32_e32 v0, 8, v0
	s_waitcnt vmcnt(2)
	v_lshlrev_b32_e32 v1, 16, v1
	;; [unrolled: 2-line block ×3, first 2 shown]
	v_and_b32_e32 v1, 0xff0000, v1
	s_waitcnt vmcnt(0)
	v_perm_b32 v0, v0, v4, s18
	v_or3_b32 v0, v0, v1, v2
	buffer_store_dword v0, v5, s[12:15], 0 offen
	buffer_load_dword v0, off, s[0:3], 0 offset:324
	s_nop 0
	buffer_load_dword v1, off, s[0:3], 0 offset:328
	buffer_load_dword v2, off, s[0:3], 0 offset:332
	;; [unrolled: 1-line block ×3, first 2 shown]
	v_cndmask_b32_e64 v5, v3, 0, s[6:7]
	v_add_u32_e32 v5, v6, v5
	v_cmp_ge_i32_e64 s[6:7], s16, v24
	s_and_b64 s[6:7], s[6:7], vcc
	v_subrev_u32_e32 v6, s10, v6
	v_cmp_gt_i32_e32 vcc, s16, v19
	s_and_b64 s[4:5], vcc, s[4:5]
	s_waitcnt vmcnt(3)
	v_lshlrev_b32_e32 v0, 8, v0
	s_waitcnt vmcnt(2)
	v_lshlrev_b32_e32 v1, 16, v1
	;; [unrolled: 2-line block ×3, first 2 shown]
	v_and_b32_e32 v1, 0xff0000, v1
	s_waitcnt vmcnt(0)
	v_perm_b32 v0, v0, v4, s18
	v_or3_b32 v0, v0, v1, v2
	buffer_store_dword v0, v5, s[12:15], 0 offen
	buffer_load_dword v0, off, s[0:3], 0 offset:292
	s_nop 0
	buffer_load_dword v1, off, s[0:3], 0 offset:296
	buffer_load_dword v2, off, s[0:3], 0 offset:300
	buffer_load_dword v4, off, s[0:3], 0 offset:288
	v_cndmask_b32_e64 v5, v3, 0, s[6:7]
	v_add_u32_e32 v5, v6, v5
	v_cndmask_b32_e64 v3, v3, 0, s[4:5]
	v_subrev_u32_e32 v3, s19, v3
	s_waitcnt vmcnt(3)
	v_lshlrev_b32_e32 v0, 8, v0
	s_waitcnt vmcnt(2)
	v_lshlrev_b32_e32 v1, 16, v1
	;; [unrolled: 2-line block ×3, first 2 shown]
	v_and_b32_e32 v1, 0xff0000, v1
	s_waitcnt vmcnt(0)
	v_perm_b32 v0, v0, v4, s18
	v_or3_b32 v0, v0, v1, v2
	buffer_store_dword v0, v5, s[12:15], 0 offen
	buffer_load_dword v0, off, s[0:3], 0 offset:276
	s_nop 0
	buffer_load_dword v1, off, s[0:3], 0 offset:280
	buffer_load_dword v2, off, s[0:3], 0 offset:284
	;; [unrolled: 1-line block ×3, first 2 shown]
	s_waitcnt vmcnt(3)
	v_lshlrev_b32_e32 v0, 8, v0
	s_waitcnt vmcnt(2)
	v_lshlrev_b32_e32 v1, 16, v1
	;; [unrolled: 2-line block ×3, first 2 shown]
	v_and_b32_e32 v1, 0xff0000, v1
	s_waitcnt vmcnt(0)
	v_perm_b32 v0, v0, v4, s18
	v_or3_b32 v0, v0, v1, v2
	v_add_u32_e32 v1, v3, v6
	buffer_store_dword v0, v1, s[12:15], 0 offen
	s_endpgm
	.section	.rodata,"a",@progbits
	.p2align	6, 0x0
	.amdhsa_kernel _ZN2ck16tensor_operation6device12_GLOBAL__N_137kernel_grouped_conv_fwd_dl_multiple_dINS_32GridwiseGemmDlMultipleD_km_kn_mnILi256EaiNS_5TupleIJaEEEaNS0_12element_wise11PassThroughES8_NS7_7AddReluELNS_25InMemoryDataOperationEnumE0ENS_16TensorDescriptorINS5_IJNS_5EmbedINS5_IJiiiiEEESD_Lb0EEENS_11PassThroughIiEENS_3PadIiiiLb0EEESI_SG_SG_NSC_INS5_IJiiEEESJ_Lb0EEESK_SG_NS_23Merge_v2_magic_divisionINS5_IJiiiEEEEESN_NS_8RightPadIiiLb0EEESP_NS_7UnMergeISJ_Lb0EEESG_EEENS5_IJNS_8SequenceIJLi0EEEENST_IJLi1EEEENST_IJLi2EEEENST_IJLi3EEEENST_IJLi4EEEENST_IJLi5EEEENST_IJLi6EEEENST_IJLi7EEEENST_IJLi8EEEENST_IJLi9ELi11ELi13EEEENST_IJLi10ELi12ELi14EEEENST_IJLi15EEEENST_IJLi16EEEENST_IJLi18EEEENST_IJLi17EEEEEEENS5_IJNST_IJLi1ELi2ELi3ELi4EEEESZ_S10_S11_S12_NST_IJLi9EEEENST_IJLi10ELi11EEEENST_IJLi12ELi13EEEENST_IJLi14EEEES15_S16_S18_S17_NST_IJLi19ELi20EEEENST_IJLi21EEEEEEENST_IJLi19ELi21ELi20EEEElEENSB_INS5_IJSR_SP_SP_SR_SG_EEENS5_IJSU_SV_SW_SY_SX_EEENS5_IJNST_IJLi1ELi2EEEESX_SY_NST_IJLi5ELi6EEEES11_EEENST_IJLi5ELi7ELi6EEEElEENSB_INS5_IJSK_SP_SP_EEENS5_IJSU_SV_SW_EEENS5_IJS1M_SX_SY_EEENST_IJLi3ELi4EEEElEELi128ELi128ELi16ELi4ELi4ELi4ELi1ENST_IJLi8ELi2EEEES1W_NST_IJLi8ELi1ELi1ELi4EEEENST_IJLi2ELi1ELi128ELi1EEEENST_IJLi1ELi2ELi0ELi3EEEES1Z_NST_IJLi4ELi1ELi1ELi4EEEES1Z_NST_IJLi1ELi1ELi1ELi4EEEES1X_S1Y_S1Z_S1Z_S20_S1Z_S21_NST_IJLi0ELi1ELi2ELi3ELi4ELi5EEEELi5ELi4EEEaNS5_IJPKaEEEaS8_S8_S9_NSB_INS5_IJSE_SG_SI_SI_SG_SG_SK_SK_SG_SN_SN_SP_SP_SR_SG_SG_NSQ_INS5_IJiNS_17integral_constantIiLi128EEEEEELb0EEENSF_INS27_IiLi4EEEEEEEENS5_IJSU_SV_SW_SX_SY_SZ_S10_S11_S12_S13_S14_S15_S16_S17_S18_NST_IJLi19EEEES1G_NST_IJLi20EEEEEEENS5_IJS1A_SZ_S10_S11_S12_S1B_S1C_S1D_S1E_S15_S16_S18_S17_S1F_S1G_NST_IJLi22EEEENST_IJLi23ELi24EEEENST_IJLi25EEEEEEENST_IJLi22ELi23ELi24ELi25EEEElEENSB_INS5_IJSR_SP_SP_SR_SG_SG_S2A_S2C_EEENS5_IJSU_SV_SW_SY_SX_SZ_S11_S10_EEENS5_IJS1M_SX_SY_S1N_S11_S12_NST_IJLi9ELi10EEEENST_IJLi11EEEEEEENST_IJLi8ELi9ELi10ELi11EEEElEENS5_IJNSB_INS5_IJSK_SP_SP_NSQ_INS5_IJiNS27_IiLi2EEENS27_IiLi64EEEEEELb0EEES2X_EEENS5_IJSU_SV_SW_SX_SY_EEENS5_IJS1M_SX_SY_NST_IJLi5ELi6ELi7EEEENST_IJLi8ELi9ELi10EEEEEEENST_IJLi5ELi6ELi7ELi8ELi9ELi10EEEElEEEEES34_NS_31BlockToCTileMap_M00_N00_M01_N01ILi128ELi128ES1V_Lb0EEENS1_30ComputePtrOffsetOfStridedBatchILi1ELi1ELi1EvEELb0ELb0EEEvPKT0_S3C_T1_PT2_T3_T4_T5_iT6_T7_T8_T9_T10_T11_
		.amdhsa_group_segment_fixed_size 32768
		.amdhsa_private_segment_fixed_size 448
		.amdhsa_kernarg_size 968
		.amdhsa_user_sgpr_count 8
		.amdhsa_user_sgpr_private_segment_buffer 1
		.amdhsa_user_sgpr_dispatch_ptr 0
		.amdhsa_user_sgpr_queue_ptr 0
		.amdhsa_user_sgpr_kernarg_segment_ptr 1
		.amdhsa_user_sgpr_dispatch_id 0
		.amdhsa_user_sgpr_flat_scratch_init 1
		.amdhsa_user_sgpr_kernarg_preload_length 0
		.amdhsa_user_sgpr_kernarg_preload_offset 0
		.amdhsa_user_sgpr_private_segment_size 0
		.amdhsa_uses_dynamic_stack 0
		.amdhsa_system_sgpr_private_segment_wavefront_offset 1
		.amdhsa_system_sgpr_workgroup_id_x 1
		.amdhsa_system_sgpr_workgroup_id_y 0
		.amdhsa_system_sgpr_workgroup_id_z 0
		.amdhsa_system_sgpr_workgroup_info 0
		.amdhsa_system_vgpr_workitem_id 0
		.amdhsa_next_free_vgpr 60
		.amdhsa_next_free_sgpr 82
		.amdhsa_accum_offset 60
		.amdhsa_reserve_vcc 1
		.amdhsa_reserve_flat_scratch 1
		.amdhsa_float_round_mode_32 0
		.amdhsa_float_round_mode_16_64 0
		.amdhsa_float_denorm_mode_32 3
		.amdhsa_float_denorm_mode_16_64 3
		.amdhsa_dx10_clamp 1
		.amdhsa_ieee_mode 1
		.amdhsa_fp16_overflow 0
		.amdhsa_tg_split 0
		.amdhsa_exception_fp_ieee_invalid_op 0
		.amdhsa_exception_fp_denorm_src 0
		.amdhsa_exception_fp_ieee_div_zero 0
		.amdhsa_exception_fp_ieee_overflow 0
		.amdhsa_exception_fp_ieee_underflow 0
		.amdhsa_exception_fp_ieee_inexact 0
		.amdhsa_exception_int_div_zero 0
	.end_amdhsa_kernel
	.section	.text._ZN2ck16tensor_operation6device12_GLOBAL__N_137kernel_grouped_conv_fwd_dl_multiple_dINS_32GridwiseGemmDlMultipleD_km_kn_mnILi256EaiNS_5TupleIJaEEEaNS0_12element_wise11PassThroughES8_NS7_7AddReluELNS_25InMemoryDataOperationEnumE0ENS_16TensorDescriptorINS5_IJNS_5EmbedINS5_IJiiiiEEESD_Lb0EEENS_11PassThroughIiEENS_3PadIiiiLb0EEESI_SG_SG_NSC_INS5_IJiiEEESJ_Lb0EEESK_SG_NS_23Merge_v2_magic_divisionINS5_IJiiiEEEEESN_NS_8RightPadIiiLb0EEESP_NS_7UnMergeISJ_Lb0EEESG_EEENS5_IJNS_8SequenceIJLi0EEEENST_IJLi1EEEENST_IJLi2EEEENST_IJLi3EEEENST_IJLi4EEEENST_IJLi5EEEENST_IJLi6EEEENST_IJLi7EEEENST_IJLi8EEEENST_IJLi9ELi11ELi13EEEENST_IJLi10ELi12ELi14EEEENST_IJLi15EEEENST_IJLi16EEEENST_IJLi18EEEENST_IJLi17EEEEEEENS5_IJNST_IJLi1ELi2ELi3ELi4EEEESZ_S10_S11_S12_NST_IJLi9EEEENST_IJLi10ELi11EEEENST_IJLi12ELi13EEEENST_IJLi14EEEES15_S16_S18_S17_NST_IJLi19ELi20EEEENST_IJLi21EEEEEEENST_IJLi19ELi21ELi20EEEElEENSB_INS5_IJSR_SP_SP_SR_SG_EEENS5_IJSU_SV_SW_SY_SX_EEENS5_IJNST_IJLi1ELi2EEEESX_SY_NST_IJLi5ELi6EEEES11_EEENST_IJLi5ELi7ELi6EEEElEENSB_INS5_IJSK_SP_SP_EEENS5_IJSU_SV_SW_EEENS5_IJS1M_SX_SY_EEENST_IJLi3ELi4EEEElEELi128ELi128ELi16ELi4ELi4ELi4ELi1ENST_IJLi8ELi2EEEES1W_NST_IJLi8ELi1ELi1ELi4EEEENST_IJLi2ELi1ELi128ELi1EEEENST_IJLi1ELi2ELi0ELi3EEEES1Z_NST_IJLi4ELi1ELi1ELi4EEEES1Z_NST_IJLi1ELi1ELi1ELi4EEEES1X_S1Y_S1Z_S1Z_S20_S1Z_S21_NST_IJLi0ELi1ELi2ELi3ELi4ELi5EEEELi5ELi4EEEaNS5_IJPKaEEEaS8_S8_S9_NSB_INS5_IJSE_SG_SI_SI_SG_SG_SK_SK_SG_SN_SN_SP_SP_SR_SG_SG_NSQ_INS5_IJiNS_17integral_constantIiLi128EEEEEELb0EEENSF_INS27_IiLi4EEEEEEEENS5_IJSU_SV_SW_SX_SY_SZ_S10_S11_S12_S13_S14_S15_S16_S17_S18_NST_IJLi19EEEES1G_NST_IJLi20EEEEEEENS5_IJS1A_SZ_S10_S11_S12_S1B_S1C_S1D_S1E_S15_S16_S18_S17_S1F_S1G_NST_IJLi22EEEENST_IJLi23ELi24EEEENST_IJLi25EEEEEEENST_IJLi22ELi23ELi24ELi25EEEElEENSB_INS5_IJSR_SP_SP_SR_SG_SG_S2A_S2C_EEENS5_IJSU_SV_SW_SY_SX_SZ_S11_S10_EEENS5_IJS1M_SX_SY_S1N_S11_S12_NST_IJLi9ELi10EEEENST_IJLi11EEEEEEENST_IJLi8ELi9ELi10ELi11EEEElEENS5_IJNSB_INS5_IJSK_SP_SP_NSQ_INS5_IJiNS27_IiLi2EEENS27_IiLi64EEEEEELb0EEES2X_EEENS5_IJSU_SV_SW_SX_SY_EEENS5_IJS1M_SX_SY_NST_IJLi5ELi6ELi7EEEENST_IJLi8ELi9ELi10EEEEEEENST_IJLi5ELi6ELi7ELi8ELi9ELi10EEEElEEEEES34_NS_31BlockToCTileMap_M00_N00_M01_N01ILi128ELi128ES1V_Lb0EEENS1_30ComputePtrOffsetOfStridedBatchILi1ELi1ELi1EvEELb0ELb0EEEvPKT0_S3C_T1_PT2_T3_T4_T5_iT6_T7_T8_T9_T10_T11_,"axG",@progbits,_ZN2ck16tensor_operation6device12_GLOBAL__N_137kernel_grouped_conv_fwd_dl_multiple_dINS_32GridwiseGemmDlMultipleD_km_kn_mnILi256EaiNS_5TupleIJaEEEaNS0_12element_wise11PassThroughES8_NS7_7AddReluELNS_25InMemoryDataOperationEnumE0ENS_16TensorDescriptorINS5_IJNS_5EmbedINS5_IJiiiiEEESD_Lb0EEENS_11PassThroughIiEENS_3PadIiiiLb0EEESI_SG_SG_NSC_INS5_IJiiEEESJ_Lb0EEESK_SG_NS_23Merge_v2_magic_divisionINS5_IJiiiEEEEESN_NS_8RightPadIiiLb0EEESP_NS_7UnMergeISJ_Lb0EEESG_EEENS5_IJNS_8SequenceIJLi0EEEENST_IJLi1EEEENST_IJLi2EEEENST_IJLi3EEEENST_IJLi4EEEENST_IJLi5EEEENST_IJLi6EEEENST_IJLi7EEEENST_IJLi8EEEENST_IJLi9ELi11ELi13EEEENST_IJLi10ELi12ELi14EEEENST_IJLi15EEEENST_IJLi16EEEENST_IJLi18EEEENST_IJLi17EEEEEEENS5_IJNST_IJLi1ELi2ELi3ELi4EEEESZ_S10_S11_S12_NST_IJLi9EEEENST_IJLi10ELi11EEEENST_IJLi12ELi13EEEENST_IJLi14EEEES15_S16_S18_S17_NST_IJLi19ELi20EEEENST_IJLi21EEEEEEENST_IJLi19ELi21ELi20EEEElEENSB_INS5_IJSR_SP_SP_SR_SG_EEENS5_IJSU_SV_SW_SY_SX_EEENS5_IJNST_IJLi1ELi2EEEESX_SY_NST_IJLi5ELi6EEEES11_EEENST_IJLi5ELi7ELi6EEEElEENSB_INS5_IJSK_SP_SP_EEENS5_IJSU_SV_SW_EEENS5_IJS1M_SX_SY_EEENST_IJLi3ELi4EEEElEELi128ELi128ELi16ELi4ELi4ELi4ELi1ENST_IJLi8ELi2EEEES1W_NST_IJLi8ELi1ELi1ELi4EEEENST_IJLi2ELi1ELi128ELi1EEEENST_IJLi1ELi2ELi0ELi3EEEES1Z_NST_IJLi4ELi1ELi1ELi4EEEES1Z_NST_IJLi1ELi1ELi1ELi4EEEES1X_S1Y_S1Z_S1Z_S20_S1Z_S21_NST_IJLi0ELi1ELi2ELi3ELi4ELi5EEEELi5ELi4EEEaNS5_IJPKaEEEaS8_S8_S9_NSB_INS5_IJSE_SG_SI_SI_SG_SG_SK_SK_SG_SN_SN_SP_SP_SR_SG_SG_NSQ_INS5_IJiNS_17integral_constantIiLi128EEEEEELb0EEENSF_INS27_IiLi4EEEEEEEENS5_IJSU_SV_SW_SX_SY_SZ_S10_S11_S12_S13_S14_S15_S16_S17_S18_NST_IJLi19EEEES1G_NST_IJLi20EEEEEEENS5_IJS1A_SZ_S10_S11_S12_S1B_S1C_S1D_S1E_S15_S16_S18_S17_S1F_S1G_NST_IJLi22EEEENST_IJLi23ELi24EEEENST_IJLi25EEEEEEENST_IJLi22ELi23ELi24ELi25EEEElEENSB_INS5_IJSR_SP_SP_SR_SG_SG_S2A_S2C_EEENS5_IJSU_SV_SW_SY_SX_SZ_S11_S10_EEENS5_IJS1M_SX_SY_S1N_S11_S12_NST_IJLi9ELi10EEEENST_IJLi11EEEEEEENST_IJLi8ELi9ELi10ELi11EEEElEENS5_IJNSB_INS5_IJSK_SP_SP_NSQ_INS5_IJiNS27_IiLi2EEENS27_IiLi64EEEEEELb0EEES2X_EEENS5_IJSU_SV_SW_SX_SY_EEENS5_IJS1M_SX_SY_NST_IJLi5ELi6ELi7EEEENST_IJLi8ELi9ELi10EEEEEEENST_IJLi5ELi6ELi7ELi8ELi9ELi10EEEElEEEEES34_NS_31BlockToCTileMap_M00_N00_M01_N01ILi128ELi128ES1V_Lb0EEENS1_30ComputePtrOffsetOfStridedBatchILi1ELi1ELi1EvEELb0ELb0EEEvPKT0_S3C_T1_PT2_T3_T4_T5_iT6_T7_T8_T9_T10_T11_,comdat
.Lfunc_end9:
	.size	_ZN2ck16tensor_operation6device12_GLOBAL__N_137kernel_grouped_conv_fwd_dl_multiple_dINS_32GridwiseGemmDlMultipleD_km_kn_mnILi256EaiNS_5TupleIJaEEEaNS0_12element_wise11PassThroughES8_NS7_7AddReluELNS_25InMemoryDataOperationEnumE0ENS_16TensorDescriptorINS5_IJNS_5EmbedINS5_IJiiiiEEESD_Lb0EEENS_11PassThroughIiEENS_3PadIiiiLb0EEESI_SG_SG_NSC_INS5_IJiiEEESJ_Lb0EEESK_SG_NS_23Merge_v2_magic_divisionINS5_IJiiiEEEEESN_NS_8RightPadIiiLb0EEESP_NS_7UnMergeISJ_Lb0EEESG_EEENS5_IJNS_8SequenceIJLi0EEEENST_IJLi1EEEENST_IJLi2EEEENST_IJLi3EEEENST_IJLi4EEEENST_IJLi5EEEENST_IJLi6EEEENST_IJLi7EEEENST_IJLi8EEEENST_IJLi9ELi11ELi13EEEENST_IJLi10ELi12ELi14EEEENST_IJLi15EEEENST_IJLi16EEEENST_IJLi18EEEENST_IJLi17EEEEEEENS5_IJNST_IJLi1ELi2ELi3ELi4EEEESZ_S10_S11_S12_NST_IJLi9EEEENST_IJLi10ELi11EEEENST_IJLi12ELi13EEEENST_IJLi14EEEES15_S16_S18_S17_NST_IJLi19ELi20EEEENST_IJLi21EEEEEEENST_IJLi19ELi21ELi20EEEElEENSB_INS5_IJSR_SP_SP_SR_SG_EEENS5_IJSU_SV_SW_SY_SX_EEENS5_IJNST_IJLi1ELi2EEEESX_SY_NST_IJLi5ELi6EEEES11_EEENST_IJLi5ELi7ELi6EEEElEENSB_INS5_IJSK_SP_SP_EEENS5_IJSU_SV_SW_EEENS5_IJS1M_SX_SY_EEENST_IJLi3ELi4EEEElEELi128ELi128ELi16ELi4ELi4ELi4ELi1ENST_IJLi8ELi2EEEES1W_NST_IJLi8ELi1ELi1ELi4EEEENST_IJLi2ELi1ELi128ELi1EEEENST_IJLi1ELi2ELi0ELi3EEEES1Z_NST_IJLi4ELi1ELi1ELi4EEEES1Z_NST_IJLi1ELi1ELi1ELi4EEEES1X_S1Y_S1Z_S1Z_S20_S1Z_S21_NST_IJLi0ELi1ELi2ELi3ELi4ELi5EEEELi5ELi4EEEaNS5_IJPKaEEEaS8_S8_S9_NSB_INS5_IJSE_SG_SI_SI_SG_SG_SK_SK_SG_SN_SN_SP_SP_SR_SG_SG_NSQ_INS5_IJiNS_17integral_constantIiLi128EEEEEELb0EEENSF_INS27_IiLi4EEEEEEEENS5_IJSU_SV_SW_SX_SY_SZ_S10_S11_S12_S13_S14_S15_S16_S17_S18_NST_IJLi19EEEES1G_NST_IJLi20EEEEEEENS5_IJS1A_SZ_S10_S11_S12_S1B_S1C_S1D_S1E_S15_S16_S18_S17_S1F_S1G_NST_IJLi22EEEENST_IJLi23ELi24EEEENST_IJLi25EEEEEEENST_IJLi22ELi23ELi24ELi25EEEElEENSB_INS5_IJSR_SP_SP_SR_SG_SG_S2A_S2C_EEENS5_IJSU_SV_SW_SY_SX_SZ_S11_S10_EEENS5_IJS1M_SX_SY_S1N_S11_S12_NST_IJLi9ELi10EEEENST_IJLi11EEEEEEENST_IJLi8ELi9ELi10ELi11EEEElEENS5_IJNSB_INS5_IJSK_SP_SP_NSQ_INS5_IJiNS27_IiLi2EEENS27_IiLi64EEEEEELb0EEES2X_EEENS5_IJSU_SV_SW_SX_SY_EEENS5_IJS1M_SX_SY_NST_IJLi5ELi6ELi7EEEENST_IJLi8ELi9ELi10EEEEEEENST_IJLi5ELi6ELi7ELi8ELi9ELi10EEEElEEEEES34_NS_31BlockToCTileMap_M00_N00_M01_N01ILi128ELi128ES1V_Lb0EEENS1_30ComputePtrOffsetOfStridedBatchILi1ELi1ELi1EvEELb0ELb0EEEvPKT0_S3C_T1_PT2_T3_T4_T5_iT6_T7_T8_T9_T10_T11_, .Lfunc_end9-_ZN2ck16tensor_operation6device12_GLOBAL__N_137kernel_grouped_conv_fwd_dl_multiple_dINS_32GridwiseGemmDlMultipleD_km_kn_mnILi256EaiNS_5TupleIJaEEEaNS0_12element_wise11PassThroughES8_NS7_7AddReluELNS_25InMemoryDataOperationEnumE0ENS_16TensorDescriptorINS5_IJNS_5EmbedINS5_IJiiiiEEESD_Lb0EEENS_11PassThroughIiEENS_3PadIiiiLb0EEESI_SG_SG_NSC_INS5_IJiiEEESJ_Lb0EEESK_SG_NS_23Merge_v2_magic_divisionINS5_IJiiiEEEEESN_NS_8RightPadIiiLb0EEESP_NS_7UnMergeISJ_Lb0EEESG_EEENS5_IJNS_8SequenceIJLi0EEEENST_IJLi1EEEENST_IJLi2EEEENST_IJLi3EEEENST_IJLi4EEEENST_IJLi5EEEENST_IJLi6EEEENST_IJLi7EEEENST_IJLi8EEEENST_IJLi9ELi11ELi13EEEENST_IJLi10ELi12ELi14EEEENST_IJLi15EEEENST_IJLi16EEEENST_IJLi18EEEENST_IJLi17EEEEEEENS5_IJNST_IJLi1ELi2ELi3ELi4EEEESZ_S10_S11_S12_NST_IJLi9EEEENST_IJLi10ELi11EEEENST_IJLi12ELi13EEEENST_IJLi14EEEES15_S16_S18_S17_NST_IJLi19ELi20EEEENST_IJLi21EEEEEEENST_IJLi19ELi21ELi20EEEElEENSB_INS5_IJSR_SP_SP_SR_SG_EEENS5_IJSU_SV_SW_SY_SX_EEENS5_IJNST_IJLi1ELi2EEEESX_SY_NST_IJLi5ELi6EEEES11_EEENST_IJLi5ELi7ELi6EEEElEENSB_INS5_IJSK_SP_SP_EEENS5_IJSU_SV_SW_EEENS5_IJS1M_SX_SY_EEENST_IJLi3ELi4EEEElEELi128ELi128ELi16ELi4ELi4ELi4ELi1ENST_IJLi8ELi2EEEES1W_NST_IJLi8ELi1ELi1ELi4EEEENST_IJLi2ELi1ELi128ELi1EEEENST_IJLi1ELi2ELi0ELi3EEEES1Z_NST_IJLi4ELi1ELi1ELi4EEEES1Z_NST_IJLi1ELi1ELi1ELi4EEEES1X_S1Y_S1Z_S1Z_S20_S1Z_S21_NST_IJLi0ELi1ELi2ELi3ELi4ELi5EEEELi5ELi4EEEaNS5_IJPKaEEEaS8_S8_S9_NSB_INS5_IJSE_SG_SI_SI_SG_SG_SK_SK_SG_SN_SN_SP_SP_SR_SG_SG_NSQ_INS5_IJiNS_17integral_constantIiLi128EEEEEELb0EEENSF_INS27_IiLi4EEEEEEEENS5_IJSU_SV_SW_SX_SY_SZ_S10_S11_S12_S13_S14_S15_S16_S17_S18_NST_IJLi19EEEES1G_NST_IJLi20EEEEEEENS5_IJS1A_SZ_S10_S11_S12_S1B_S1C_S1D_S1E_S15_S16_S18_S17_S1F_S1G_NST_IJLi22EEEENST_IJLi23ELi24EEEENST_IJLi25EEEEEEENST_IJLi22ELi23ELi24ELi25EEEElEENSB_INS5_IJSR_SP_SP_SR_SG_SG_S2A_S2C_EEENS5_IJSU_SV_SW_SY_SX_SZ_S11_S10_EEENS5_IJS1M_SX_SY_S1N_S11_S12_NST_IJLi9ELi10EEEENST_IJLi11EEEEEEENST_IJLi8ELi9ELi10ELi11EEEElEENS5_IJNSB_INS5_IJSK_SP_SP_NSQ_INS5_IJiNS27_IiLi2EEENS27_IiLi64EEEEEELb0EEES2X_EEENS5_IJSU_SV_SW_SX_SY_EEENS5_IJS1M_SX_SY_NST_IJLi5ELi6ELi7EEEENST_IJLi8ELi9ELi10EEEEEEENST_IJLi5ELi6ELi7ELi8ELi9ELi10EEEElEEEEES34_NS_31BlockToCTileMap_M00_N00_M01_N01ILi128ELi128ES1V_Lb0EEENS1_30ComputePtrOffsetOfStridedBatchILi1ELi1ELi1EvEELb0ELb0EEEvPKT0_S3C_T1_PT2_T3_T4_T5_iT6_T7_T8_T9_T10_T11_
                                        ; -- End function
	.section	.AMDGPU.csdata,"",@progbits
; Kernel info:
; codeLenInByte = 8708
; NumSgprs: 88
; NumVgprs: 60
; NumAgprs: 0
; TotalNumVgprs: 60
; ScratchSize: 448
; MemoryBound: 0
; FloatMode: 240
; IeeeMode: 1
; LDSByteSize: 32768 bytes/workgroup (compile time only)
; SGPRBlocks: 10
; VGPRBlocks: 7
; NumSGPRsForWavesPerEU: 88
; NumVGPRsForWavesPerEU: 60
; AccumOffset: 60
; Occupancy: 2
; WaveLimiterHint : 1
; COMPUTE_PGM_RSRC2:SCRATCH_EN: 1
; COMPUTE_PGM_RSRC2:USER_SGPR: 8
; COMPUTE_PGM_RSRC2:TRAP_HANDLER: 0
; COMPUTE_PGM_RSRC2:TGID_X_EN: 1
; COMPUTE_PGM_RSRC2:TGID_Y_EN: 0
; COMPUTE_PGM_RSRC2:TGID_Z_EN: 0
; COMPUTE_PGM_RSRC2:TIDIG_COMP_CNT: 0
; COMPUTE_PGM_RSRC3_GFX90A:ACCUM_OFFSET: 14
; COMPUTE_PGM_RSRC3_GFX90A:TG_SPLIT: 0
	.section	.text._ZN2ck16tensor_operation6device12_GLOBAL__N_137kernel_grouped_conv_fwd_dl_multiple_dINS_32GridwiseGemmDlMultipleD_km_kn_mnILi256EaiNS_5TupleIJaEEEaNS0_12element_wise11PassThroughES8_NS7_7AddReluELNS_25InMemoryDataOperationEnumE0ENS_16TensorDescriptorINS5_IJNS_5EmbedINS5_IJiiiiiEEESD_Lb0EEENS_11PassThroughIiEENS_3PadIiiiLb0EEESI_SI_SG_SG_NSC_INS5_IJiiEEESJ_Lb0EEESK_SK_SG_NS_23Merge_v2_magic_divisionINS5_IJiiiiEEEEESN_NS_8RightPadIiiLb0EEESP_NS_7UnMergeISJ_Lb0EEESG_EEENS5_IJNS_8SequenceIJLi0EEEENST_IJLi1EEEENST_IJLi2EEEENST_IJLi3EEEENST_IJLi4EEEENST_IJLi5EEEENST_IJLi6EEEENST_IJLi7EEEENST_IJLi8EEEENST_IJLi9EEEENST_IJLi10EEEENST_IJLi11ELi13ELi15ELi17EEEENST_IJLi12ELi14ELi16ELi18EEEENST_IJLi19EEEENST_IJLi20EEEENST_IJLi22EEEENST_IJLi21EEEEEEENS5_IJNST_IJLi1ELi2ELi3ELi4ELi5EEEES10_S11_S12_S13_S14_NST_IJLi11EEEENST_IJLi12ELi13EEEENST_IJLi14ELi15EEEENST_IJLi16ELi17EEEENST_IJLi18EEEES17_S18_S1A_S19_NST_IJLi23ELi24EEEENST_IJLi25EEEEEEENST_IJLi23ELi25ELi24EEEElEENSB_INS5_IJSR_SP_SP_SR_SG_EEENS5_IJSU_SV_SW_SY_SX_EEENS5_IJNST_IJLi1ELi2EEEESX_SY_NST_IJLi5ELi6EEEES11_EEENST_IJLi5ELi7ELi6EEEElEENSB_INS5_IJSK_SP_SP_EEENS5_IJSU_SV_SW_EEENS5_IJS1P_SX_SY_EEENST_IJLi3ELi4EEEElEELi128ELi128ELi16ELi4ELi4ELi4ELi1ENST_IJLi8ELi2EEEES1Z_NST_IJLi8ELi1ELi1ELi4EEEENST_IJLi2ELi1ELi128ELi1EEEENST_IJLi1ELi2ELi0ELi3EEEES22_NST_IJLi4ELi1ELi1ELi4EEEES22_NST_IJLi1ELi1ELi1ELi4EEEES20_S21_S22_S22_S23_S22_S24_NST_IJLi0ELi1ELi2ELi3ELi4ELi5EEEELi5ELi4EEEaNS5_IJPKaEEEaS8_S8_S9_NSB_INS5_IJSE_SG_SI_SI_SI_SG_SG_SK_SK_SK_SG_SN_SN_SP_SP_SR_SG_SG_NSQ_INS5_IJiNS_17integral_constantIiLi128EEEEEELb0EEENSF_INS2A_IiLi4EEEEEEEENS5_IJSU_SV_SW_SX_SY_SZ_S10_S11_S12_S13_S14_S15_S16_S17_S18_S19_S1A_NST_IJLi23EEEES1J_NST_IJLi24EEEEEEENS5_IJS1C_S10_S11_S12_S13_S14_S1D_S1E_S1F_S1G_S1H_S17_S18_S1A_S19_S1I_S1J_NST_IJLi26EEEENST_IJLi27ELi28EEEENST_IJLi29EEEEEEENST_IJLi26ELi27ELi28ELi29EEEElEENSB_INS5_IJSR_SP_SP_SR_SG_SG_S2D_S2F_EEENS5_IJSU_SV_SW_SY_SX_SZ_S11_S10_EEENS5_IJS1P_SX_SY_S1Q_S11_S12_NST_IJLi9ELi10EEEES1D_EEENST_IJLi8ELi9ELi10ELi11EEEElEENS5_IJNSB_INS5_IJSK_SP_SP_NSQ_INS5_IJiNS2A_IiLi2EEENS2A_IiLi64EEEEEELb0EEES2Z_EEENS5_IJSU_SV_SW_SX_SY_EEENS5_IJS1P_SX_SY_NST_IJLi5ELi6ELi7EEEENST_IJLi8ELi9ELi10EEEEEEENST_IJLi5ELi6ELi7ELi8ELi9ELi10EEEElEEEEES36_NS_31BlockToCTileMap_M00_N00_M01_N01ILi128ELi128ES1Y_Lb0EEENS1_30ComputePtrOffsetOfStridedBatchILi1ELi1ELi1EvEELb1ELb1EEEvPKT0_S3E_T1_PT2_T3_T4_T5_iT6_T7_T8_T9_T10_T11_,"axG",@progbits,_ZN2ck16tensor_operation6device12_GLOBAL__N_137kernel_grouped_conv_fwd_dl_multiple_dINS_32GridwiseGemmDlMultipleD_km_kn_mnILi256EaiNS_5TupleIJaEEEaNS0_12element_wise11PassThroughES8_NS7_7AddReluELNS_25InMemoryDataOperationEnumE0ENS_16TensorDescriptorINS5_IJNS_5EmbedINS5_IJiiiiiEEESD_Lb0EEENS_11PassThroughIiEENS_3PadIiiiLb0EEESI_SI_SG_SG_NSC_INS5_IJiiEEESJ_Lb0EEESK_SK_SG_NS_23Merge_v2_magic_divisionINS5_IJiiiiEEEEESN_NS_8RightPadIiiLb0EEESP_NS_7UnMergeISJ_Lb0EEESG_EEENS5_IJNS_8SequenceIJLi0EEEENST_IJLi1EEEENST_IJLi2EEEENST_IJLi3EEEENST_IJLi4EEEENST_IJLi5EEEENST_IJLi6EEEENST_IJLi7EEEENST_IJLi8EEEENST_IJLi9EEEENST_IJLi10EEEENST_IJLi11ELi13ELi15ELi17EEEENST_IJLi12ELi14ELi16ELi18EEEENST_IJLi19EEEENST_IJLi20EEEENST_IJLi22EEEENST_IJLi21EEEEEEENS5_IJNST_IJLi1ELi2ELi3ELi4ELi5EEEES10_S11_S12_S13_S14_NST_IJLi11EEEENST_IJLi12ELi13EEEENST_IJLi14ELi15EEEENST_IJLi16ELi17EEEENST_IJLi18EEEES17_S18_S1A_S19_NST_IJLi23ELi24EEEENST_IJLi25EEEEEEENST_IJLi23ELi25ELi24EEEElEENSB_INS5_IJSR_SP_SP_SR_SG_EEENS5_IJSU_SV_SW_SY_SX_EEENS5_IJNST_IJLi1ELi2EEEESX_SY_NST_IJLi5ELi6EEEES11_EEENST_IJLi5ELi7ELi6EEEElEENSB_INS5_IJSK_SP_SP_EEENS5_IJSU_SV_SW_EEENS5_IJS1P_SX_SY_EEENST_IJLi3ELi4EEEElEELi128ELi128ELi16ELi4ELi4ELi4ELi1ENST_IJLi8ELi2EEEES1Z_NST_IJLi8ELi1ELi1ELi4EEEENST_IJLi2ELi1ELi128ELi1EEEENST_IJLi1ELi2ELi0ELi3EEEES22_NST_IJLi4ELi1ELi1ELi4EEEES22_NST_IJLi1ELi1ELi1ELi4EEEES20_S21_S22_S22_S23_S22_S24_NST_IJLi0ELi1ELi2ELi3ELi4ELi5EEEELi5ELi4EEEaNS5_IJPKaEEEaS8_S8_S9_NSB_INS5_IJSE_SG_SI_SI_SI_SG_SG_SK_SK_SK_SG_SN_SN_SP_SP_SR_SG_SG_NSQ_INS5_IJiNS_17integral_constantIiLi128EEEEEELb0EEENSF_INS2A_IiLi4EEEEEEEENS5_IJSU_SV_SW_SX_SY_SZ_S10_S11_S12_S13_S14_S15_S16_S17_S18_S19_S1A_NST_IJLi23EEEES1J_NST_IJLi24EEEEEEENS5_IJS1C_S10_S11_S12_S13_S14_S1D_S1E_S1F_S1G_S1H_S17_S18_S1A_S19_S1I_S1J_NST_IJLi26EEEENST_IJLi27ELi28EEEENST_IJLi29EEEEEEENST_IJLi26ELi27ELi28ELi29EEEElEENSB_INS5_IJSR_SP_SP_SR_SG_SG_S2D_S2F_EEENS5_IJSU_SV_SW_SY_SX_SZ_S11_S10_EEENS5_IJS1P_SX_SY_S1Q_S11_S12_NST_IJLi9ELi10EEEES1D_EEENST_IJLi8ELi9ELi10ELi11EEEElEENS5_IJNSB_INS5_IJSK_SP_SP_NSQ_INS5_IJiNS2A_IiLi2EEENS2A_IiLi64EEEEEELb0EEES2Z_EEENS5_IJSU_SV_SW_SX_SY_EEENS5_IJS1P_SX_SY_NST_IJLi5ELi6ELi7EEEENST_IJLi8ELi9ELi10EEEEEEENST_IJLi5ELi6ELi7ELi8ELi9ELi10EEEElEEEEES36_NS_31BlockToCTileMap_M00_N00_M01_N01ILi128ELi128ES1Y_Lb0EEENS1_30ComputePtrOffsetOfStridedBatchILi1ELi1ELi1EvEELb1ELb1EEEvPKT0_S3E_T1_PT2_T3_T4_T5_iT6_T7_T8_T9_T10_T11_,comdat
	.globl	_ZN2ck16tensor_operation6device12_GLOBAL__N_137kernel_grouped_conv_fwd_dl_multiple_dINS_32GridwiseGemmDlMultipleD_km_kn_mnILi256EaiNS_5TupleIJaEEEaNS0_12element_wise11PassThroughES8_NS7_7AddReluELNS_25InMemoryDataOperationEnumE0ENS_16TensorDescriptorINS5_IJNS_5EmbedINS5_IJiiiiiEEESD_Lb0EEENS_11PassThroughIiEENS_3PadIiiiLb0EEESI_SI_SG_SG_NSC_INS5_IJiiEEESJ_Lb0EEESK_SK_SG_NS_23Merge_v2_magic_divisionINS5_IJiiiiEEEEESN_NS_8RightPadIiiLb0EEESP_NS_7UnMergeISJ_Lb0EEESG_EEENS5_IJNS_8SequenceIJLi0EEEENST_IJLi1EEEENST_IJLi2EEEENST_IJLi3EEEENST_IJLi4EEEENST_IJLi5EEEENST_IJLi6EEEENST_IJLi7EEEENST_IJLi8EEEENST_IJLi9EEEENST_IJLi10EEEENST_IJLi11ELi13ELi15ELi17EEEENST_IJLi12ELi14ELi16ELi18EEEENST_IJLi19EEEENST_IJLi20EEEENST_IJLi22EEEENST_IJLi21EEEEEEENS5_IJNST_IJLi1ELi2ELi3ELi4ELi5EEEES10_S11_S12_S13_S14_NST_IJLi11EEEENST_IJLi12ELi13EEEENST_IJLi14ELi15EEEENST_IJLi16ELi17EEEENST_IJLi18EEEES17_S18_S1A_S19_NST_IJLi23ELi24EEEENST_IJLi25EEEEEEENST_IJLi23ELi25ELi24EEEElEENSB_INS5_IJSR_SP_SP_SR_SG_EEENS5_IJSU_SV_SW_SY_SX_EEENS5_IJNST_IJLi1ELi2EEEESX_SY_NST_IJLi5ELi6EEEES11_EEENST_IJLi5ELi7ELi6EEEElEENSB_INS5_IJSK_SP_SP_EEENS5_IJSU_SV_SW_EEENS5_IJS1P_SX_SY_EEENST_IJLi3ELi4EEEElEELi128ELi128ELi16ELi4ELi4ELi4ELi1ENST_IJLi8ELi2EEEES1Z_NST_IJLi8ELi1ELi1ELi4EEEENST_IJLi2ELi1ELi128ELi1EEEENST_IJLi1ELi2ELi0ELi3EEEES22_NST_IJLi4ELi1ELi1ELi4EEEES22_NST_IJLi1ELi1ELi1ELi4EEEES20_S21_S22_S22_S23_S22_S24_NST_IJLi0ELi1ELi2ELi3ELi4ELi5EEEELi5ELi4EEEaNS5_IJPKaEEEaS8_S8_S9_NSB_INS5_IJSE_SG_SI_SI_SI_SG_SG_SK_SK_SK_SG_SN_SN_SP_SP_SR_SG_SG_NSQ_INS5_IJiNS_17integral_constantIiLi128EEEEEELb0EEENSF_INS2A_IiLi4EEEEEEEENS5_IJSU_SV_SW_SX_SY_SZ_S10_S11_S12_S13_S14_S15_S16_S17_S18_S19_S1A_NST_IJLi23EEEES1J_NST_IJLi24EEEEEEENS5_IJS1C_S10_S11_S12_S13_S14_S1D_S1E_S1F_S1G_S1H_S17_S18_S1A_S19_S1I_S1J_NST_IJLi26EEEENST_IJLi27ELi28EEEENST_IJLi29EEEEEEENST_IJLi26ELi27ELi28ELi29EEEElEENSB_INS5_IJSR_SP_SP_SR_SG_SG_S2D_S2F_EEENS5_IJSU_SV_SW_SY_SX_SZ_S11_S10_EEENS5_IJS1P_SX_SY_S1Q_S11_S12_NST_IJLi9ELi10EEEES1D_EEENST_IJLi8ELi9ELi10ELi11EEEElEENS5_IJNSB_INS5_IJSK_SP_SP_NSQ_INS5_IJiNS2A_IiLi2EEENS2A_IiLi64EEEEEELb0EEES2Z_EEENS5_IJSU_SV_SW_SX_SY_EEENS5_IJS1P_SX_SY_NST_IJLi5ELi6ELi7EEEENST_IJLi8ELi9ELi10EEEEEEENST_IJLi5ELi6ELi7ELi8ELi9ELi10EEEElEEEEES36_NS_31BlockToCTileMap_M00_N00_M01_N01ILi128ELi128ES1Y_Lb0EEENS1_30ComputePtrOffsetOfStridedBatchILi1ELi1ELi1EvEELb1ELb1EEEvPKT0_S3E_T1_PT2_T3_T4_T5_iT6_T7_T8_T9_T10_T11_ ; -- Begin function _ZN2ck16tensor_operation6device12_GLOBAL__N_137kernel_grouped_conv_fwd_dl_multiple_dINS_32GridwiseGemmDlMultipleD_km_kn_mnILi256EaiNS_5TupleIJaEEEaNS0_12element_wise11PassThroughES8_NS7_7AddReluELNS_25InMemoryDataOperationEnumE0ENS_16TensorDescriptorINS5_IJNS_5EmbedINS5_IJiiiiiEEESD_Lb0EEENS_11PassThroughIiEENS_3PadIiiiLb0EEESI_SI_SG_SG_NSC_INS5_IJiiEEESJ_Lb0EEESK_SK_SG_NS_23Merge_v2_magic_divisionINS5_IJiiiiEEEEESN_NS_8RightPadIiiLb0EEESP_NS_7UnMergeISJ_Lb0EEESG_EEENS5_IJNS_8SequenceIJLi0EEEENST_IJLi1EEEENST_IJLi2EEEENST_IJLi3EEEENST_IJLi4EEEENST_IJLi5EEEENST_IJLi6EEEENST_IJLi7EEEENST_IJLi8EEEENST_IJLi9EEEENST_IJLi10EEEENST_IJLi11ELi13ELi15ELi17EEEENST_IJLi12ELi14ELi16ELi18EEEENST_IJLi19EEEENST_IJLi20EEEENST_IJLi22EEEENST_IJLi21EEEEEEENS5_IJNST_IJLi1ELi2ELi3ELi4ELi5EEEES10_S11_S12_S13_S14_NST_IJLi11EEEENST_IJLi12ELi13EEEENST_IJLi14ELi15EEEENST_IJLi16ELi17EEEENST_IJLi18EEEES17_S18_S1A_S19_NST_IJLi23ELi24EEEENST_IJLi25EEEEEEENST_IJLi23ELi25ELi24EEEElEENSB_INS5_IJSR_SP_SP_SR_SG_EEENS5_IJSU_SV_SW_SY_SX_EEENS5_IJNST_IJLi1ELi2EEEESX_SY_NST_IJLi5ELi6EEEES11_EEENST_IJLi5ELi7ELi6EEEElEENSB_INS5_IJSK_SP_SP_EEENS5_IJSU_SV_SW_EEENS5_IJS1P_SX_SY_EEENST_IJLi3ELi4EEEElEELi128ELi128ELi16ELi4ELi4ELi4ELi1ENST_IJLi8ELi2EEEES1Z_NST_IJLi8ELi1ELi1ELi4EEEENST_IJLi2ELi1ELi128ELi1EEEENST_IJLi1ELi2ELi0ELi3EEEES22_NST_IJLi4ELi1ELi1ELi4EEEES22_NST_IJLi1ELi1ELi1ELi4EEEES20_S21_S22_S22_S23_S22_S24_NST_IJLi0ELi1ELi2ELi3ELi4ELi5EEEELi5ELi4EEEaNS5_IJPKaEEEaS8_S8_S9_NSB_INS5_IJSE_SG_SI_SI_SI_SG_SG_SK_SK_SK_SG_SN_SN_SP_SP_SR_SG_SG_NSQ_INS5_IJiNS_17integral_constantIiLi128EEEEEELb0EEENSF_INS2A_IiLi4EEEEEEEENS5_IJSU_SV_SW_SX_SY_SZ_S10_S11_S12_S13_S14_S15_S16_S17_S18_S19_S1A_NST_IJLi23EEEES1J_NST_IJLi24EEEEEEENS5_IJS1C_S10_S11_S12_S13_S14_S1D_S1E_S1F_S1G_S1H_S17_S18_S1A_S19_S1I_S1J_NST_IJLi26EEEENST_IJLi27ELi28EEEENST_IJLi29EEEEEEENST_IJLi26ELi27ELi28ELi29EEEElEENSB_INS5_IJSR_SP_SP_SR_SG_SG_S2D_S2F_EEENS5_IJSU_SV_SW_SY_SX_SZ_S11_S10_EEENS5_IJS1P_SX_SY_S1Q_S11_S12_NST_IJLi9ELi10EEEES1D_EEENST_IJLi8ELi9ELi10ELi11EEEElEENS5_IJNSB_INS5_IJSK_SP_SP_NSQ_INS5_IJiNS2A_IiLi2EEENS2A_IiLi64EEEEEELb0EEES2Z_EEENS5_IJSU_SV_SW_SX_SY_EEENS5_IJS1P_SX_SY_NST_IJLi5ELi6ELi7EEEENST_IJLi8ELi9ELi10EEEEEEENST_IJLi5ELi6ELi7ELi8ELi9ELi10EEEElEEEEES36_NS_31BlockToCTileMap_M00_N00_M01_N01ILi128ELi128ES1Y_Lb0EEENS1_30ComputePtrOffsetOfStridedBatchILi1ELi1ELi1EvEELb1ELb1EEEvPKT0_S3E_T1_PT2_T3_T4_T5_iT6_T7_T8_T9_T10_T11_
	.p2align	8
	.type	_ZN2ck16tensor_operation6device12_GLOBAL__N_137kernel_grouped_conv_fwd_dl_multiple_dINS_32GridwiseGemmDlMultipleD_km_kn_mnILi256EaiNS_5TupleIJaEEEaNS0_12element_wise11PassThroughES8_NS7_7AddReluELNS_25InMemoryDataOperationEnumE0ENS_16TensorDescriptorINS5_IJNS_5EmbedINS5_IJiiiiiEEESD_Lb0EEENS_11PassThroughIiEENS_3PadIiiiLb0EEESI_SI_SG_SG_NSC_INS5_IJiiEEESJ_Lb0EEESK_SK_SG_NS_23Merge_v2_magic_divisionINS5_IJiiiiEEEEESN_NS_8RightPadIiiLb0EEESP_NS_7UnMergeISJ_Lb0EEESG_EEENS5_IJNS_8SequenceIJLi0EEEENST_IJLi1EEEENST_IJLi2EEEENST_IJLi3EEEENST_IJLi4EEEENST_IJLi5EEEENST_IJLi6EEEENST_IJLi7EEEENST_IJLi8EEEENST_IJLi9EEEENST_IJLi10EEEENST_IJLi11ELi13ELi15ELi17EEEENST_IJLi12ELi14ELi16ELi18EEEENST_IJLi19EEEENST_IJLi20EEEENST_IJLi22EEEENST_IJLi21EEEEEEENS5_IJNST_IJLi1ELi2ELi3ELi4ELi5EEEES10_S11_S12_S13_S14_NST_IJLi11EEEENST_IJLi12ELi13EEEENST_IJLi14ELi15EEEENST_IJLi16ELi17EEEENST_IJLi18EEEES17_S18_S1A_S19_NST_IJLi23ELi24EEEENST_IJLi25EEEEEEENST_IJLi23ELi25ELi24EEEElEENSB_INS5_IJSR_SP_SP_SR_SG_EEENS5_IJSU_SV_SW_SY_SX_EEENS5_IJNST_IJLi1ELi2EEEESX_SY_NST_IJLi5ELi6EEEES11_EEENST_IJLi5ELi7ELi6EEEElEENSB_INS5_IJSK_SP_SP_EEENS5_IJSU_SV_SW_EEENS5_IJS1P_SX_SY_EEENST_IJLi3ELi4EEEElEELi128ELi128ELi16ELi4ELi4ELi4ELi1ENST_IJLi8ELi2EEEES1Z_NST_IJLi8ELi1ELi1ELi4EEEENST_IJLi2ELi1ELi128ELi1EEEENST_IJLi1ELi2ELi0ELi3EEEES22_NST_IJLi4ELi1ELi1ELi4EEEES22_NST_IJLi1ELi1ELi1ELi4EEEES20_S21_S22_S22_S23_S22_S24_NST_IJLi0ELi1ELi2ELi3ELi4ELi5EEEELi5ELi4EEEaNS5_IJPKaEEEaS8_S8_S9_NSB_INS5_IJSE_SG_SI_SI_SI_SG_SG_SK_SK_SK_SG_SN_SN_SP_SP_SR_SG_SG_NSQ_INS5_IJiNS_17integral_constantIiLi128EEEEEELb0EEENSF_INS2A_IiLi4EEEEEEEENS5_IJSU_SV_SW_SX_SY_SZ_S10_S11_S12_S13_S14_S15_S16_S17_S18_S19_S1A_NST_IJLi23EEEES1J_NST_IJLi24EEEEEEENS5_IJS1C_S10_S11_S12_S13_S14_S1D_S1E_S1F_S1G_S1H_S17_S18_S1A_S19_S1I_S1J_NST_IJLi26EEEENST_IJLi27ELi28EEEENST_IJLi29EEEEEEENST_IJLi26ELi27ELi28ELi29EEEElEENSB_INS5_IJSR_SP_SP_SR_SG_SG_S2D_S2F_EEENS5_IJSU_SV_SW_SY_SX_SZ_S11_S10_EEENS5_IJS1P_SX_SY_S1Q_S11_S12_NST_IJLi9ELi10EEEES1D_EEENST_IJLi8ELi9ELi10ELi11EEEElEENS5_IJNSB_INS5_IJSK_SP_SP_NSQ_INS5_IJiNS2A_IiLi2EEENS2A_IiLi64EEEEEELb0EEES2Z_EEENS5_IJSU_SV_SW_SX_SY_EEENS5_IJS1P_SX_SY_NST_IJLi5ELi6ELi7EEEENST_IJLi8ELi9ELi10EEEEEEENST_IJLi5ELi6ELi7ELi8ELi9ELi10EEEElEEEEES36_NS_31BlockToCTileMap_M00_N00_M01_N01ILi128ELi128ES1Y_Lb0EEENS1_30ComputePtrOffsetOfStridedBatchILi1ELi1ELi1EvEELb1ELb1EEEvPKT0_S3E_T1_PT2_T3_T4_T5_iT6_T7_T8_T9_T10_T11_,@function
_ZN2ck16tensor_operation6device12_GLOBAL__N_137kernel_grouped_conv_fwd_dl_multiple_dINS_32GridwiseGemmDlMultipleD_km_kn_mnILi256EaiNS_5TupleIJaEEEaNS0_12element_wise11PassThroughES8_NS7_7AddReluELNS_25InMemoryDataOperationEnumE0ENS_16TensorDescriptorINS5_IJNS_5EmbedINS5_IJiiiiiEEESD_Lb0EEENS_11PassThroughIiEENS_3PadIiiiLb0EEESI_SI_SG_SG_NSC_INS5_IJiiEEESJ_Lb0EEESK_SK_SG_NS_23Merge_v2_magic_divisionINS5_IJiiiiEEEEESN_NS_8RightPadIiiLb0EEESP_NS_7UnMergeISJ_Lb0EEESG_EEENS5_IJNS_8SequenceIJLi0EEEENST_IJLi1EEEENST_IJLi2EEEENST_IJLi3EEEENST_IJLi4EEEENST_IJLi5EEEENST_IJLi6EEEENST_IJLi7EEEENST_IJLi8EEEENST_IJLi9EEEENST_IJLi10EEEENST_IJLi11ELi13ELi15ELi17EEEENST_IJLi12ELi14ELi16ELi18EEEENST_IJLi19EEEENST_IJLi20EEEENST_IJLi22EEEENST_IJLi21EEEEEEENS5_IJNST_IJLi1ELi2ELi3ELi4ELi5EEEES10_S11_S12_S13_S14_NST_IJLi11EEEENST_IJLi12ELi13EEEENST_IJLi14ELi15EEEENST_IJLi16ELi17EEEENST_IJLi18EEEES17_S18_S1A_S19_NST_IJLi23ELi24EEEENST_IJLi25EEEEEEENST_IJLi23ELi25ELi24EEEElEENSB_INS5_IJSR_SP_SP_SR_SG_EEENS5_IJSU_SV_SW_SY_SX_EEENS5_IJNST_IJLi1ELi2EEEESX_SY_NST_IJLi5ELi6EEEES11_EEENST_IJLi5ELi7ELi6EEEElEENSB_INS5_IJSK_SP_SP_EEENS5_IJSU_SV_SW_EEENS5_IJS1P_SX_SY_EEENST_IJLi3ELi4EEEElEELi128ELi128ELi16ELi4ELi4ELi4ELi1ENST_IJLi8ELi2EEEES1Z_NST_IJLi8ELi1ELi1ELi4EEEENST_IJLi2ELi1ELi128ELi1EEEENST_IJLi1ELi2ELi0ELi3EEEES22_NST_IJLi4ELi1ELi1ELi4EEEES22_NST_IJLi1ELi1ELi1ELi4EEEES20_S21_S22_S22_S23_S22_S24_NST_IJLi0ELi1ELi2ELi3ELi4ELi5EEEELi5ELi4EEEaNS5_IJPKaEEEaS8_S8_S9_NSB_INS5_IJSE_SG_SI_SI_SI_SG_SG_SK_SK_SK_SG_SN_SN_SP_SP_SR_SG_SG_NSQ_INS5_IJiNS_17integral_constantIiLi128EEEEEELb0EEENSF_INS2A_IiLi4EEEEEEEENS5_IJSU_SV_SW_SX_SY_SZ_S10_S11_S12_S13_S14_S15_S16_S17_S18_S19_S1A_NST_IJLi23EEEES1J_NST_IJLi24EEEEEEENS5_IJS1C_S10_S11_S12_S13_S14_S1D_S1E_S1F_S1G_S1H_S17_S18_S1A_S19_S1I_S1J_NST_IJLi26EEEENST_IJLi27ELi28EEEENST_IJLi29EEEEEEENST_IJLi26ELi27ELi28ELi29EEEElEENSB_INS5_IJSR_SP_SP_SR_SG_SG_S2D_S2F_EEENS5_IJSU_SV_SW_SY_SX_SZ_S11_S10_EEENS5_IJS1P_SX_SY_S1Q_S11_S12_NST_IJLi9ELi10EEEES1D_EEENST_IJLi8ELi9ELi10ELi11EEEElEENS5_IJNSB_INS5_IJSK_SP_SP_NSQ_INS5_IJiNS2A_IiLi2EEENS2A_IiLi64EEEEEELb0EEES2Z_EEENS5_IJSU_SV_SW_SX_SY_EEENS5_IJS1P_SX_SY_NST_IJLi5ELi6ELi7EEEENST_IJLi8ELi9ELi10EEEEEEENST_IJLi5ELi6ELi7ELi8ELi9ELi10EEEElEEEEES36_NS_31BlockToCTileMap_M00_N00_M01_N01ILi128ELi128ES1Y_Lb0EEENS1_30ComputePtrOffsetOfStridedBatchILi1ELi1ELi1EvEELb1ELb1EEEvPKT0_S3E_T1_PT2_T3_T4_T5_iT6_T7_T8_T9_T10_T11_: ; @_ZN2ck16tensor_operation6device12_GLOBAL__N_137kernel_grouped_conv_fwd_dl_multiple_dINS_32GridwiseGemmDlMultipleD_km_kn_mnILi256EaiNS_5TupleIJaEEEaNS0_12element_wise11PassThroughES8_NS7_7AddReluELNS_25InMemoryDataOperationEnumE0ENS_16TensorDescriptorINS5_IJNS_5EmbedINS5_IJiiiiiEEESD_Lb0EEENS_11PassThroughIiEENS_3PadIiiiLb0EEESI_SI_SG_SG_NSC_INS5_IJiiEEESJ_Lb0EEESK_SK_SG_NS_23Merge_v2_magic_divisionINS5_IJiiiiEEEEESN_NS_8RightPadIiiLb0EEESP_NS_7UnMergeISJ_Lb0EEESG_EEENS5_IJNS_8SequenceIJLi0EEEENST_IJLi1EEEENST_IJLi2EEEENST_IJLi3EEEENST_IJLi4EEEENST_IJLi5EEEENST_IJLi6EEEENST_IJLi7EEEENST_IJLi8EEEENST_IJLi9EEEENST_IJLi10EEEENST_IJLi11ELi13ELi15ELi17EEEENST_IJLi12ELi14ELi16ELi18EEEENST_IJLi19EEEENST_IJLi20EEEENST_IJLi22EEEENST_IJLi21EEEEEEENS5_IJNST_IJLi1ELi2ELi3ELi4ELi5EEEES10_S11_S12_S13_S14_NST_IJLi11EEEENST_IJLi12ELi13EEEENST_IJLi14ELi15EEEENST_IJLi16ELi17EEEENST_IJLi18EEEES17_S18_S1A_S19_NST_IJLi23ELi24EEEENST_IJLi25EEEEEEENST_IJLi23ELi25ELi24EEEElEENSB_INS5_IJSR_SP_SP_SR_SG_EEENS5_IJSU_SV_SW_SY_SX_EEENS5_IJNST_IJLi1ELi2EEEESX_SY_NST_IJLi5ELi6EEEES11_EEENST_IJLi5ELi7ELi6EEEElEENSB_INS5_IJSK_SP_SP_EEENS5_IJSU_SV_SW_EEENS5_IJS1P_SX_SY_EEENST_IJLi3ELi4EEEElEELi128ELi128ELi16ELi4ELi4ELi4ELi1ENST_IJLi8ELi2EEEES1Z_NST_IJLi8ELi1ELi1ELi4EEEENST_IJLi2ELi1ELi128ELi1EEEENST_IJLi1ELi2ELi0ELi3EEEES22_NST_IJLi4ELi1ELi1ELi4EEEES22_NST_IJLi1ELi1ELi1ELi4EEEES20_S21_S22_S22_S23_S22_S24_NST_IJLi0ELi1ELi2ELi3ELi4ELi5EEEELi5ELi4EEEaNS5_IJPKaEEEaS8_S8_S9_NSB_INS5_IJSE_SG_SI_SI_SI_SG_SG_SK_SK_SK_SG_SN_SN_SP_SP_SR_SG_SG_NSQ_INS5_IJiNS_17integral_constantIiLi128EEEEEELb0EEENSF_INS2A_IiLi4EEEEEEEENS5_IJSU_SV_SW_SX_SY_SZ_S10_S11_S12_S13_S14_S15_S16_S17_S18_S19_S1A_NST_IJLi23EEEES1J_NST_IJLi24EEEEEEENS5_IJS1C_S10_S11_S12_S13_S14_S1D_S1E_S1F_S1G_S1H_S17_S18_S1A_S19_S1I_S1J_NST_IJLi26EEEENST_IJLi27ELi28EEEENST_IJLi29EEEEEEENST_IJLi26ELi27ELi28ELi29EEEElEENSB_INS5_IJSR_SP_SP_SR_SG_SG_S2D_S2F_EEENS5_IJSU_SV_SW_SY_SX_SZ_S11_S10_EEENS5_IJS1P_SX_SY_S1Q_S11_S12_NST_IJLi9ELi10EEEES1D_EEENST_IJLi8ELi9ELi10ELi11EEEElEENS5_IJNSB_INS5_IJSK_SP_SP_NSQ_INS5_IJiNS2A_IiLi2EEENS2A_IiLi64EEEEEELb0EEES2Z_EEENS5_IJSU_SV_SW_SX_SY_EEENS5_IJS1P_SX_SY_NST_IJLi5ELi6ELi7EEEENST_IJLi8ELi9ELi10EEEEEEENST_IJLi5ELi6ELi7ELi8ELi9ELi10EEEElEEEEES36_NS_31BlockToCTileMap_M00_N00_M01_N01ILi128ELi128ES1Y_Lb0EEENS1_30ComputePtrOffsetOfStridedBatchILi1ELi1ELi1EvEELb1ELb1EEEvPKT0_S3E_T1_PT2_T3_T4_T5_iT6_T7_T8_T9_T10_T11_
; %bb.0:
	s_add_u32 flat_scratch_lo, s6, s9
	s_addc_u32 flat_scratch_hi, s7, 0
	s_mov_b64 s[6:7], s[4:5]
	s_load_dwordx4 s[64:67], s[4:5], 0x0
	s_nop 0
	s_load_dwordx2 s[4:5], s[4:5], 0x18
                                        ; implicit-def: $vgpr90 : SGPR spill to VGPR lane
	s_add_u32 s0, s0, s9
	s_addc_u32 s1, s1, 0
	v_lshrrev_b32_e32 v5, 5, v0
	v_lshlrev_b32_e32 v7, 1, v0
	s_waitcnt lgkmcnt(0)
	v_writelane_b32 v90, s4, 0
	v_writelane_b32 v90, s5, 1
	s_load_dword s4, s[6:7], 0x24
	s_load_dwordx4 s[52:55], s[6:7], 0x3c
	s_load_dword s88, s[6:7], 0x4c
	s_load_dwordx8 s[36:43], s[6:7], 0x54
	s_load_dwordx4 s[56:59], s[6:7], 0x88
	s_waitcnt lgkmcnt(0)
	s_abs_i32 s5, s4
	v_cvt_f32_u32_e32 v1, s5
	s_load_dwordx2 s[58:59], s[6:7], 0x98
	s_load_dwordx2 s[84:85], s[6:7], 0xa8
	s_load_dword s9, s[6:7], 0x300
	s_load_dwordx8 s[44:51], s[6:7], 0xb8
	s_sub_i32 s10, 0, s5
	s_load_dwordx4 s[12:15], s[6:7], 0xd8
	s_load_dwordx8 s[16:23], s[6:7], 0xec
	v_rcp_iflag_f32_e32 v1, v1
	s_waitcnt lgkmcnt(0)
	s_xor_b32 s4, s9, s4
	s_abs_i32 s9, s9
	s_ashr_i32 s4, s4, 31
	v_mul_f32_e32 v1, 0x4f7ffffe, v1
	v_cvt_u32_f32_e32 v1, v1
	v_lshlrev_b32_e32 v6, 6, v5
	v_and_b32_e32 v8, 0x1f8, v7
	v_lshrrev_b32_e32 v22, 1, v0
	v_readfirstlane_b32 s11, v1
	s_mul_i32 s10, s10, s11
	s_mul_hi_u32 s10, s11, s10
	s_add_i32 s11, s11, s10
	s_mul_hi_u32 s10, s9, s11
	s_mul_i32 s11, s10, s5
	s_sub_i32 s9, s9, s11
	s_add_i32 s11, s10, 1
	s_sub_i32 s15, s9, s5
	s_cmp_ge_u32 s9, s5
	s_cselect_b32 s10, s11, s10
	s_cselect_b32 s9, s15, s9
	s_add_i32 s11, s10, 1
	s_cmp_ge_u32 s9, s5
	s_cselect_b32 s5, s11, s10
	s_xor_b32 s5, s5, s4
	s_sub_i32 s5, s5, s4
	s_abs_i32 s9, s5
	v_cvt_f32_u32_e32 v1, s9
	s_sub_i32 s11, 0, s9
	s_abs_i32 s10, s8
	s_xor_b32 s5, s8, s5
	v_rcp_iflag_f32_e32 v1, v1
	s_ashr_i32 s5, s5, 31
	s_load_dwordx4 s[60:63], s[6:7], 0x10c
	s_load_dword s4, s[6:7], 0x120
	s_load_dword s19, s[6:7], 0x12c
	;; [unrolled: 1-line block ×3, first 2 shown]
	s_load_dwordx4 s[72:75], s[6:7], 0x298
	s_load_dwordx4 s[80:83], s[6:7], 0x2ac
	;; [unrolled: 1-line block ×3, first 2 shown]
	s_load_dwordx8 s[24:31], s[6:7], 0x2d8
	v_mul_f32_e32 v1, 0x4f7ffffe, v1
	v_cvt_u32_f32_e32 v1, v1
	v_sub_u32_e32 v6, v8, v6
	v_mov_b32_e32 v42, 0
	s_mov_b32 s71, 0x20000
	v_readfirstlane_b32 s15, v1
	s_mul_i32 s11, s11, s15
	s_mul_hi_u32 s11, s15, s11
	s_add_i32 s15, s15, s11
	s_mul_hi_u32 s11, s10, s15
	s_mul_i32 s15, s11, s9
	s_sub_i32 s10, s10, s15
	s_add_i32 s15, s11, 1
	s_sub_i32 s33, s10, s9
	s_cmp_ge_u32 s10, s9
	s_cselect_b32 s11, s15, s11
	s_cselect_b32 s10, s33, s10
	s_add_i32 s15, s11, 1
	s_cmp_ge_u32 s10, s9
	s_cselect_b32 s9, s15, s11
	s_xor_b32 s9, s9, s5
	s_sub_i32 s89, s9, s5
	s_ashr_i32 s90, s89, 31
	s_waitcnt lgkmcnt(0)
	s_mul_i32 s5, s24, s90
	s_mul_hi_u32 s9, s24, s89
	s_add_i32 s5, s9, s5
	s_mul_i32 s9, s25, s89
	s_add_i32 s5, s5, s9
	s_mul_i32 s9, s24, s89
	s_mul_i32 s10, s26, s90
	s_mul_hi_u32 s11, s26, s89
	s_mul_i32 s15, s30, s90
	s_mul_hi_u32 s24, s30, s89
	s_add_i32 s10, s11, s10
	s_mul_i32 s11, s27, s89
	s_add_i32 s15, s24, s15
	s_mul_i32 s24, s31, s89
	s_add_i32 s10, s10, s11
	s_add_i32 s15, s15, s24
	s_add_u32 s68, s64, s9
	s_mul_i32 s11, s26, s89
	s_addc_u32 s69, s65, s5
	s_add_u32 s64, s66, s11
	s_mul_hi_u32 s5, s83, s8
	s_addc_u32 s65, s67, s10
	s_add_i32 s5, s8, s5
	s_lshr_b32 s9, s5, s79
	s_mul_hi_u32 s5, s9, s82
	s_add_i32 s5, s9, s5
	s_lshr_b32 s10, s5, s78
	s_mul_hi_u32 s5, s10, s81
	s_add_i32 s5, s10, s5
	s_lshr_b32 s11, s5, s77
	v_lshlrev_b32_e32 v1, 3, v0
	s_mul_hi_u32 s24, s11, s80
	v_and_b32_e32 v23, 8, v1
	v_writelane_b32 v90, s15, 2
	s_load_dword s70, s[6:7], 0x160
	s_load_dword s5, s[6:7], 0x170
	;; [unrolled: 1-line block ×6, first 2 shown]
	s_load_dwordx2 s[34:35], s[6:7], 0x1d0
	s_add_i32 s24, s11, s24
	s_load_dword s25, s[6:7], 0x27c
	s_load_dword s26, s[6:7], 0x28c
	s_mul_i32 s27, s9, s75
	v_mul_lo_u32 v25, s23, v23
	s_lshr_b32 s24, s24, s76
	s_sub_i32 s8, s8, s27
	s_mul_i32 s27, s10, s74
	v_mul_hi_u32 v1, v25, s22
	v_lshlrev_b32_e32 v0, 2, v0
	s_sub_i32 s27, s9, s27
	s_mul_i32 s9, s11, s73
	s_mul_i32 s24, s24, s72
	v_add_u32_e32 v1, v25, v1
	v_and_or_b32 v39, v0, 4, v6
	v_and_b32_e32 v0, 0x1fc, v7
	s_sub_i32 s9, s10, s9
	s_sub_i32 s10, s11, s24
	v_lshrrev_b32_e32 v1, s62, v1
	v_sub_u32_e32 v0, v0, v8
	s_waitcnt lgkmcnt(0)
	s_mul_i32 s10, s10, s25
	v_mul_hi_u32 v2, v1, s21
	v_lshl_add_u32 v40, v5, 3, v0
	s_add_i32 s10, s27, s10
	v_add_u32_e32 v2, v1, v2
	v_lshlrev_b32_e32 v0, 2, v40
	v_writelane_b32 v90, s10, 3
	v_lshl_or_b32 v24, s10, 7, v22
	v_lshrrev_b32_e32 v2, s61, v2
	buffer_store_dword v42, off, s[0:3], 0 offset:64
	buffer_store_dword v40, off, s[0:3], 0 offset:68
	;; [unrolled: 1-line block ×12, first 2 shown]
	v_lshlrev_b32_e32 v0, 2, v39
	s_mov_b64 s[10:11], src_shared_base
	v_mul_hi_u32 v3, v2, s20
	buffer_store_dword v0, off, s[0:3], 0 offset:112
	buffer_store_dword v42, off, s[0:3], 0 offset:116
	;; [unrolled: 1-line block ×72, first 2 shown]
	v_mov_b32_e32 v0, s11
	v_mov_b32_e32 v5, 0x4000
	v_add_u32_e32 v3, v2, v3
	buffer_store_dword v0, off, s[0:3], 0 offset:404
	buffer_store_dword v42, off, s[0:3], 0 offset:400
	buffer_store_byte v42, off, s[0:3], 0 offset:409
	buffer_store_dword v0, off, s[0:3], 0 offset:420
	buffer_store_dword v5, off, s[0:3], 0 offset:416
	buffer_store_byte v42, off, s[0:3], 0 offset:425
	buffer_store_dword v0, off, s[0:3], 0 offset:436
	v_mov_b32_e32 v5, 0x2000
	v_mul_hi_u32 v4, v24, s50
	buffer_store_dword v5, off, s[0:3], 0 offset:432
	buffer_store_byte v42, off, s[0:3], 0 offset:441
	buffer_store_dword v0, off, s[0:3], 0 offset:452
	v_mov_b32_e32 v0, 0x6000
	v_lshrrev_b32_e32 v9, s60, v3
	v_add_u32_e32 v4, v24, v4
	buffer_store_dword v0, off, s[0:3], 0 offset:448
	buffer_store_byte v42, off, s[0:3], 0 offset:457
	v_mul_lo_u32 v0, v1, s18
	v_mul_lo_u32 v3, v9, s16
	v_sub_u32_e32 v5, v25, v0
	v_mul_lo_u32 v0, v2, s17
	v_sub_u32_e32 v10, v2, v3
	v_lshrrev_b32_e32 v2, s14, v4
	v_mul_hi_u32 v4, v2, s49
	v_add_u32_e32 v4, v2, v4
	s_lshl_b32 s10, s23, 2
	v_lshrrev_b32_e32 v4, s13, v4
	v_add_u32_e32 v45, s10, v25
	v_mul_hi_u32 v11, v4, s48
	v_mul_hi_u32 v7, v45, s22
	v_add_u32_e32 v11, v4, v11
	v_sub_u32_e32 v6, v1, v0
	v_add_u32_e32 v7, v45, v7
	v_mul_lo_u32 v3, v2, s46
	v_lshrrev_b32_e32 v11, s12, v11
	v_mul_lo_u32 v0, v6, s84
	v_mul_lo_u32 v1, v5, s88
	v_lshrrev_b32_e32 v7, s62, v7
	v_sub_u32_e32 v3, v24, v3
	v_mul_lo_u32 v12, v11, s44
	v_mul_lo_u32 v13, v4, s45
	v_writelane_b32 v90, s10, 4
	v_mul_hi_u32 v8, v7, s21
	v_sub_u32_e32 v4, v4, v12
	v_sub_u32_e32 v12, v2, v13
	v_mad_u64_u32 v[16:17], s[10:11], v3, s85, v[0:1]
	v_mul_lo_u32 v0, v10, s58
	v_add_u32_e32 v8, v7, v8
	v_mul_lo_u32 v2, v9, s56
	v_mad_u64_u32 v[20:21], s[10:11], v12, s59, v[0:1]
	v_mad_u64_u32 v[18:19], s[10:11], v4, s57, v[2:3]
	v_subrev_u32_e32 v0, s43, v16
	v_subrev_u32_e32 v2, s40, v20
	v_lshrrev_b32_e32 v8, s61, v8
	v_subrev_u32_e32 v3, s37, v18
	v_mul_lo_u32 v4, v11, s52
	v_mul_lo_u32 v2, v2, s54
	;; [unrolled: 1-line block ×5, first 2 shown]
	v_add3_u32 v0, v0, v1, v2
	v_mul_lo_u32 v12, v7, s18
	v_sub_u32_e32 v36, v7, v11
	v_mul_hi_u32 v7, v8, s20
	v_add3_u32 v4, v0, v4, v3
	v_add_u32_e32 v7, v8, v7
	buffer_load_dwordx4 v[0:3], v4, s[68:71], 0 offen
	v_sub_u32_e32 v6, v36, v6
	v_lshrrev_b32_e32 v59, s60, v7
	v_mul_lo_u32 v17, v6, s84
	v_mul_lo_u32 v6, v59, s16
	v_sub_u32_e32 v35, v45, v12
	v_sub_u32_e32 v60, v8, v6
	;; [unrolled: 1-line block ×5, first 2 shown]
	v_mul_lo_u32 v21, v6, s56
	s_mul_i32 s9, s9, s26
	v_mul_lo_u32 v19, v7, s58
	v_mul_lo_u32 v6, v21, s53
	;; [unrolled: 1-line block ×5, first 2 shown]
	v_add3_u32 v5, v8, v5, v6
	s_add_i32 s8, s8, s9
	v_add3_u32 v64, v5, v7, v4
	v_lshl_or_b32 v26, s8, 7, v22
	buffer_load_dwordx4 v[4:7], v64, s[68:71], 0 offen
	v_mul_lo_u32 v27, s93, v23
	v_mul_lo_u32 v43, v26, s5
	v_add_u32_e32 v12, v43, v27
	s_mov_b32 s67, s71
	buffer_load_dwordx4 v[8:11], v12, s[64:67], 0 offen
	s_lshl_b32 s82, s93, 2
	v_add_u32_e32 v12, s82, v12
	buffer_load_dwordx4 v[12:15], v12, s[64:67], 0 offen
	v_writelane_b32 v90, s8, 5
	s_load_dword s8, s[6:7], 0x1dc
	s_load_dword s5, s[6:7], 0x74
	;; [unrolled: 1-line block ×3, first 2 shown]
	v_cmp_gt_i32_e32 vcc, s19, v25
	s_sub_i32 s81, s39, s41
	s_sub_i32 s83, s36, s38
	s_waitcnt lgkmcnt(0)
	v_writelane_b32 v90, s8, 6
	s_load_dword s8, s[6:7], 0x1e8
	s_sub_i32 s85, s42, s5
	v_cmp_gt_i32_e64 s[10:11], s85, v16
	v_add_u32_e32 v44, v16, v17
	v_add_u32_e32 v37, v20, v19
	s_waitcnt lgkmcnt(0)
	v_writelane_b32 v90, s8, 7
	s_load_dword s33, s[6:7], 0x22c
	s_load_dword s8, s[6:7], 0x238
	v_add_u32_e32 v38, v18, v21
	s_mov_b32 s99, 0x3020104
	v_add_u32_e32 v41, s82, v27
	s_mov_b64 s[48:49], src_private_base
	s_waitcnt lgkmcnt(0)
	v_writelane_b32 v90, s8, 8
	s_mul_i32 s8, s30, s89
	v_writelane_b32 v90, s8, 9
	v_cmp_gt_i32_e64 s[8:9], s4, v24
	v_cmp_le_i32_e64 s[4:5], s43, v16
	s_and_b64 s[4:5], s[4:5], s[10:11]
	s_and_b64 s[10:11], vcc, s[4:5]
	v_cmp_le_i32_e32 vcc, s40, v20
	v_cmp_gt_i32_e64 s[4:5], s81, v20
	s_and_b64 s[4:5], vcc, s[4:5]
	s_and_b64 s[10:11], s[10:11], s[4:5]
	v_cmp_le_i32_e32 vcc, s37, v18
	v_cmp_gt_i32_e64 s[4:5], s83, v18
	s_and_b64 s[4:5], vcc, s[4:5]
	s_and_b64 s[4:5], s[10:11], s[4:5]
	s_and_b64 vcc, s[8:9], s[4:5]
	v_cmp_le_i32_e64 s[4:5], s43, v44
	v_cmp_gt_i32_e64 s[10:11], s85, v44
	s_and_b64 s[4:5], s[4:5], s[10:11]
	v_lshlrev_b32_e32 v16, 2, v22
	v_lshl_or_b32 v34, v23, 9, v16
	s_mov_b32 s44, s53
	s_mov_b32 s45, s54
	;; [unrolled: 1-line block ×6, first 2 shown]
	s_movk_i32 s36, 0x90
	s_mov_b32 s41, s49
	s_movk_i32 s76, 0x190
	s_sub_i32 s52, s12, 32
	s_mov_b32 s80, s49
	s_waitcnt vmcnt(3)
	v_cndmask_b32_e32 v3, 0, v3, vcc
	v_cndmask_b32_e32 v2, 0, v2, vcc
	;; [unrolled: 1-line block ×4, first 2 shown]
	v_cmp_gt_i32_e32 vcc, s19, v45
	s_and_b64 s[10:11], vcc, s[4:5]
	v_cmp_le_i32_e32 vcc, s40, v37
	v_cmp_gt_i32_e64 s[4:5], s81, v37
	s_and_b64 s[4:5], vcc, s[4:5]
	s_and_b64 s[10:11], s[10:11], s[4:5]
	v_cmp_le_i32_e32 vcc, s37, v38
	v_cmp_gt_i32_e64 s[4:5], s83, v38
	s_and_b64 s[4:5], vcc, s[4:5]
	s_and_b64 s[4:5], s[10:11], s[4:5]
	s_and_b64 vcc, s[8:9], s[4:5]
	v_perm_b32 v0, v0, v0, s99
	v_cmp_gt_i32_e64 s[10:11], s15, v26
	ds_write2st64_b32 v34, v0, v1 offset1:2
	v_perm_b32 v0, v2, v2, s99
	ds_write2st64_b32 v34, v0, v3 offset0:4 offset1:6
	s_mov_b32 s4, s56
	s_waitcnt vmcnt(2)
	v_cndmask_b32_e32 v7, 0, v7, vcc
	v_cndmask_b32_e32 v6, 0, v6, vcc
	;; [unrolled: 1-line block ×4, first 2 shown]
	v_cmp_gt_i32_e32 vcc, s77, v27
	s_and_b64 vcc, vcc, s[10:11]
	v_perm_b32 v0, v4, v4, s99
	s_waitcnt vmcnt(1)
	v_cndmask_b32_e32 v11, 0, v11, vcc
	v_cndmask_b32_e32 v10, 0, v10, vcc
	;; [unrolled: 1-line block ×4, first 2 shown]
	v_cmp_gt_i32_e32 vcc, s77, v41
	ds_write2st64_b32 v34, v0, v5 offset0:8 offset1:10
	v_perm_b32 v0, v6, v6, s99
	s_and_b64 vcc, vcc, s[10:11]
	ds_write2st64_b32 v34, v0, v7 offset0:12 offset1:14
	v_perm_b32 v0, v8, v8, s99
	s_waitcnt vmcnt(0)
	v_cndmask_b32_e32 v12, 0, v12, vcc
	ds_write2st64_b32 v34, v0, v9 offset0:64 offset1:66
	v_perm_b32 v0, v10, v10, s99
	v_cndmask_b32_e32 v14, 0, v14, vcc
	v_cndmask_b32_e32 v13, 0, v13, vcc
	ds_write2st64_b32 v34, v0, v11 offset0:68 offset1:70
	v_perm_b32 v0, v12, v12, s99
	v_cndmask_b32_e32 v15, 0, v15, vcc
	ds_write2st64_b32 v34, v0, v13 offset0:72 offset1:74
	v_perm_b32 v0, v14, v14, s99
	ds_write2st64_b32 v34, v0, v15 offset0:76 offset1:78
	v_writelane_b32 v90, s4, 10
	s_load_dwordx2 s[38:39], s[6:7], 0x220
	s_load_dwordx2 s[46:47], s[6:7], 0x210
	;; [unrolled: 1-line block ×3, first 2 shown]
	v_or_b32_e32 v0, 36, v23
	v_or_b32_e32 v1, 32, v23
	;; [unrolled: 1-line block ×4, first 2 shown]
	v_mul_lo_u32 v50, s23, v3
	v_mul_lo_u32 v51, s23, v2
	;; [unrolled: 1-line block ×4, first 2 shown]
	v_writelane_b32 v90, s5, 11
	v_mul_lo_u32 v46, s93, v0
	v_mul_lo_u32 v47, s93, v1
	;; [unrolled: 1-line block ×4, first 2 shown]
	v_sub_u32_e32 v53, 0, v52
	v_mov_b32_e32 v55, v54
	v_mov_b32_e32 v56, v52
	;; [unrolled: 1-line block ×4, first 2 shown]
	s_movk_i32 s79, 0x1a0
	s_mov_b32 s78, s49
	s_movk_i32 s74, 0x1b0
	s_mov_b32 s75, s49
	;; [unrolled: 2-line block ×3, first 2 shown]
	s_mov_b32 s94, s21
	v_writelane_b32 v90, s6, 12
	s_mov_b32 s59, s56
	s_mov_b32 s98, s58
	;; [unrolled: 1-line block ×6, first 2 shown]
	s_lshl_b32 s72, s93, 5
	s_lshl_b32 s92, s23, 5
	s_sub_i32 s57, 0, s18
	s_mov_b32 s21, 0
	s_mov_b32 s56, 0
	s_movk_i32 s32, 0x7800
	v_writelane_b32 v90, s7, 13
	s_getpc_b64 s[50:51]
	s_add_u32 s50, s50, _ZNK2ck6detail15static_for_implINS_8SequenceIJLi1ELi2ELi3ELi4ELi5ELi6ELi7ELi8ELi9ELi10ELi11ELi12ELi13ELi14ELi15EEEEEclIZNKS_80BlockwiseGemmDl_A_BK0_BM_BK1_B_BK0_BN_BK1_C_BM0_BM1_BN0_BN1_pipeline_BM0_2_BN0_2ILi256EaaiKNS_16TensorDescriptorINS_5TupleIJNS_5EmbedINS8_IJNS_17integral_constantIiLi16EEENSA_IiLi128EEENSA_IiLi4EEEEEENS8_IJNSA_IiLi512EEESD_NSA_IiLi1EEEEEELb0EEEEEENS8_IJNS2_IJLi0EEEEEEENS8_IJNS2_IJLi1ELi2ELi3EEEEEEESM_NSA_IlLl8192EEEEESQ_Li4ELi4ELi1ENS2_IJLi8ELi2EEEESR_Li4ELi4ELb0EE3RunINS7_INS8_IJNS_7UnMergeINS8_IJNSA_IiLi2EEESD_SV_SD_EEELb0EEEEEESL_NS8_IJNS2_IJLi1ELi2ELi3ELi4EEEEEEESZ_NSA_IlLl64EEEEENS_13DynamicBufferILNS_16AddressSpaceEnumE2EaSO_Lb1ELNS_22AmdBufferCoherenceEnumE0EiEES16_NS_12StaticBufferILS14_4EiLi64ELb1EEEEEvRKT_RKT0_RKT1_RT2_EUlS19_E_EEvS19_@rel32@lo+4
	s_addc_u32 s51, s51, _ZNK2ck6detail15static_for_implINS_8SequenceIJLi1ELi2ELi3ELi4ELi5ELi6ELi7ELi8ELi9ELi10ELi11ELi12ELi13ELi14ELi15EEEEEclIZNKS_80BlockwiseGemmDl_A_BK0_BM_BK1_B_BK0_BN_BK1_C_BM0_BM1_BN0_BN1_pipeline_BM0_2_BN0_2ILi256EaaiKNS_16TensorDescriptorINS_5TupleIJNS_5EmbedINS8_IJNS_17integral_constantIiLi16EEENSA_IiLi128EEENSA_IiLi4EEEEEENS8_IJNSA_IiLi512EEESD_NSA_IiLi1EEEEEELb0EEEEEENS8_IJNS2_IJLi0EEEEEEENS8_IJNS2_IJLi1ELi2ELi3EEEEEEESM_NSA_IlLl8192EEEEESQ_Li4ELi4ELi1ENS2_IJLi8ELi2EEEESR_Li4ELi4ELb0EE3RunINS7_INS8_IJNS_7UnMergeINS8_IJNSA_IiLi2EEESD_SV_SD_EEELb0EEEEEESL_NS8_IJNS2_IJLi1ELi2ELi3ELi4EEEEEEESZ_NSA_IlLl64EEEEENS_13DynamicBufferILNS_16AddressSpaceEnumE2EaSO_Lb1ELNS_22AmdBufferCoherenceEnumE0EiEES16_NS_12StaticBufferILS14_4EiLi64ELb1EEEEEvRKT_RKT0_RKT1_RT2_EUlS19_E_EEvS19_@rel32@hi+12
.LBB10_1:                               ; =>This Inner Loop Header: Depth=1
	v_mul_hi_u32 v0, s22, v58
	v_add_u32_e32 v2, s95, v50
	v_add_u32_e32 v0, v2, v0
	v_lshrrev_b32_e32 v0, s62, v0
	v_mul_hi_u32 v4, v0, s94
	v_add_u32_e32 v4, v0, v4
	v_lshrrev_b32_e32 v9, s61, v4
	v_mul_lo_u32 v4, v9, s17
	v_mul_lo_u32 v3, s57, v0
	v_sub_u32_e32 v10, v0, v4
	v_add_u32_e32 v8, v2, v3
	v_sub_u32_e32 v3, v3, v35
	v_sub_u32_e32 v0, v10, v36
	v_add_u32_e32 v3, v2, v3
	v_mul_lo_u32 v0, v0, s84
	v_add_u32_e32 v12, v0, v44
	v_mul_lo_u32 v0, v0, s55
	v_mul_lo_u32 v3, v3, s88
	v_mul_hi_u32 v1, s22, v57
	v_add3_u32 v13, v3, v64, v0
	v_add_u32_e32 v0, s95, v51
	v_cmp_le_i32_e64 s[4:5], s43, v12
	v_cmp_gt_i32_e64 s[12:13], s85, v12
	v_add_u32_e32 v1, v0, v1
	v_mul_hi_u32 v4, v9, s20
	v_cmp_gt_i32_e32 vcc, s19, v2
	s_and_b64 s[4:5], s[4:5], s[12:13]
	v_lshrrev_b32_e32 v1, s62, v1
	v_add_u32_e32 v11, v9, v4
	s_and_b64 s[24:25], vcc, s[4:5]
	v_mad_u64_u32 v[4:5], s[4:5], s57, v1, v[0:1]
	v_mul_hi_u32 v5, v1, s94
	v_add_u32_e32 v5, v1, v5
	v_lshrrev_b32_e32 v5, s61, v5
	v_sub_u32_e32 v2, v4, v8
	v_mul_lo_u32 v8, v5, s17
	v_sub_u32_e32 v8, v1, v8
	v_sub_u32_e32 v1, v8, v10
	v_mul_lo_u32 v1, v1, s84
	v_add_u32_e32 v12, v1, v12
	v_cmp_le_i32_e64 s[4:5], s43, v12
	v_cmp_gt_i32_e64 s[12:13], s85, v12
	v_add_u32_e32 v3, s21, v49
	v_add_u32_e32 v14, v49, v43
	v_cmp_gt_i32_e32 vcc, s19, v0
	s_and_b64 s[4:5], s[4:5], s[12:13]
	v_mul_lo_u32 v15, v1, s55
	v_mul_lo_u32 v16, v2, s88
	s_and_b64 s[14:15], vcc, s[4:5]
	v_cmp_gt_i32_e32 vcc, s77, v3
	buffer_load_dwordx4 v[0:3], v14, s[64:67], 0 offen
	s_and_b64 vcc, s[10:11], vcc
	v_mul_hi_u32 v6, s22, v56
	v_mul_hi_u32 v7, s22, v55
	v_add_u32_e32 v63, s95, v54
	v_mul_hi_u32 v10, v5, s20
	v_add_u32_e32 v10, v5, v10
	v_add_u32_e32 v62, s21, v47
	;; [unrolled: 1-line block ×3, first 2 shown]
	s_waitcnt vmcnt(0)
	v_cndmask_b32_e32 v67, 0, v1, vcc
	v_cndmask_b32_e32 v17, 0, v0, vcc
	v_add_u32_e32 v0, s21, v48
	v_add_u32_e32 v1, v48, v43
	v_cndmask_b32_e32 v66, 0, v3, vcc
	v_cndmask_b32_e32 v14, 0, v2, vcc
	v_cmp_gt_i32_e32 vcc, s77, v0
	buffer_load_dwordx4 v[0:3], v1, s[64:67], 0 offen
	s_and_b64 vcc, s[10:11], vcc
	v_perm_b32 v78, v14, v14, s99
	v_perm_b32 v79, v17, v17, s99
	s_waitcnt vmcnt(0)
	v_cndmask_b32_e32 v0, 0, v0, vcc
	v_cndmask_b32_e32 v75, 0, v1, vcc
	v_cndmask_b32_e32 v1, 0, v2, vcc
	v_perm_b32 v77, v0, v0, s99
	v_add_u32_e32 v0, s95, v52
	v_perm_b32 v76, v1, v1, s99
	v_add_u32_e32 v1, v0, v6
	v_lshrrev_b32_e32 v1, s62, v1
	v_cndmask_b32_e32 v74, 0, v3, vcc
	v_mad_u64_u32 v[2:3], s[4:5], s57, v1, v[0:1]
	v_mul_hi_u32 v3, v1, s94
	v_cmp_gt_i32_e32 vcc, s19, v0
	v_add_u32_e32 v0, v63, v7
	v_sub_u32_e32 v2, v2, v4
	v_add_u32_e32 v3, v1, v3
	v_lshrrev_b32_e32 v0, s62, v0
	v_lshrrev_b32_e32 v71, s61, v3
	v_mul_lo_u32 v72, v2, s88
	v_mul_hi_u32 v2, v0, s94
	v_mul_lo_u32 v3, v71, s17
	v_add_u32_e32 v2, v0, v2
	v_mul_lo_u32 v6, v1, s18
	v_sub_u32_e32 v1, v1, v3
	v_lshrrev_b32_e32 v68, s61, v2
	v_sub_u32_e32 v3, v1, v8
	v_mul_lo_u32 v2, v68, s96
	v_mul_hi_u32 v4, v71, s20
	v_mul_lo_u32 v3, v3, s84
	v_sub_u32_e32 v36, v0, v2
	v_add_u32_e32 v73, v71, v4
	v_add_u32_e32 v4, v3, v12
	v_mul_lo_u32 v70, v3, s55
	v_mul_lo_u32 v3, v0, s97
	v_sub_u32_e32 v0, v36, v1
	v_mul_lo_u32 v65, v0, s84
	v_cmp_le_i32_e64 s[4:5], s43, v4
	v_cmp_gt_i32_e64 s[12:13], s85, v4
	v_add_u32_e32 v44, v65, v4
	v_lshrrev_b32_e32 v4, s60, v11
	v_sub_u32_e32 v35, v63, v3
	v_mul_lo_u32 v0, v4, s16
	v_add3_u32 v64, v35, v6, v53
	v_mul_hi_u32 v1, v68, s20
	v_sub_u32_e32 v6, v9, v0
	v_add_u32_e32 v69, v68, v1
	v_sub_u32_e32 v0, v4, v59
	v_sub_u32_e32 v1, v6, v60
	v_mul_lo_u32 v1, v1, s98
	v_mul_lo_u32 v0, v0, s59
	v_add_u32_e32 v7, v0, v38
	v_add_u32_e32 v8, v1, v37
	v_mul_lo_u32 v0, v0, s53
	v_mul_lo_u32 v1, v1, s54
	v_add3_u32 v9, v13, v0, v1
	buffer_load_dwordx4 v[0:3], v9, s[68:71], 0 offen
	s_and_b64 s[4:5], s[4:5], s[12:13]
	s_and_b64 s[12:13], vcc, s[4:5]
	v_cmp_le_i32_e32 vcc, s40, v8
	v_cmp_gt_i32_e64 s[4:5], s81, v8
	s_and_b64 s[4:5], vcc, s[4:5]
	s_and_b64 s[24:25], s[24:25], s[4:5]
	v_cmp_le_i32_e32 vcc, s37, v7
	v_cmp_gt_i32_e64 s[4:5], s83, v7
	s_and_b64 s[4:5], vcc, s[4:5]
	s_and_b64 s[4:5], s[4:5], s[24:25]
	s_and_b64 vcc, s[8:9], s[4:5]
	v_lshrrev_b32_e32 v60, s60, v10
	s_waitcnt vmcnt(0)
	v_cndmask_b32_e32 v88, 0, v0, vcc
	v_mul_lo_u32 v0, v60, s16
	v_sub_u32_e32 v80, v5, v0
	v_sub_u32_e32 v0, v60, v4
	v_cndmask_b32_e32 v59, 0, v1, vcc
	v_sub_u32_e32 v1, v80, v6
	v_mul_lo_u32 v0, v0, s59
	v_mul_lo_u32 v1, v1, s98
	v_add_u32_e32 v81, v0, v7
	v_mul_lo_u32 v0, v0, s53
	v_add_u32_e32 v82, v1, v8
	v_mul_lo_u32 v1, v1, s54
	v_add3_u32 v0, v15, v16, v0
	v_add3_u32 v83, v0, v9, v1
	v_cndmask_b32_e32 v37, 0, v3, vcc
	v_cndmask_b32_e32 v38, 0, v2, vcc
	buffer_load_dwordx4 v[0:3], v83, s[68:71], 0 offen
	v_cmp_le_i32_e32 vcc, s40, v82
	v_cmp_gt_i32_e64 s[4:5], s81, v82
	s_and_b64 s[4:5], vcc, s[4:5]
	s_and_b64 s[14:15], s[14:15], s[4:5]
	v_cmp_le_i32_e32 vcc, s37, v81
	v_cmp_gt_i32_e64 s[4:5], s83, v81
	s_and_b64 s[4:5], vcc, s[4:5]
	s_and_b64 s[4:5], s[4:5], s[14:15]
	s_and_b64 vcc, s[8:9], s[4:5]
	s_waitcnt lgkmcnt(0)
	s_barrier
	buffer_store_dword v42, off, s[0:3], 0
	buffer_store_dword v42, off, s[0:3], 0 offset:4
	buffer_store_dword v42, off, s[0:3], 0 offset:8
	;; [unrolled: 1-line block ×15, first 2 shown]
	s_waitcnt vmcnt(16)
	v_cndmask_b32_e32 v87, 0, v0, vcc
	buffer_load_dword v0, off, s[0:3], 0 offset:80
	v_cndmask_b32_e32 v84, 0, v3, vcc
	v_cndmask_b32_e32 v85, 0, v2, vcc
	buffer_load_dword v2, off, s[0:3], 0 offset:400
	buffer_load_dword v3, off, s[0:3], 0 offset:404
	v_cndmask_b32_e32 v86, 0, v1, vcc
	s_waitcnt vmcnt(2)
	v_ashrrev_i32_e32 v1, 31, v0
	s_waitcnt vmcnt(1)
	v_add_co_u32_e32 v12, vcc, v2, v0
	s_waitcnt vmcnt(0)
	v_addc_co_u32_e32 v13, vcc, v3, v1, vcc
	flat_load_dwordx4 v[0:3], v[12:13]
	s_waitcnt vmcnt(0) lgkmcnt(0)
	buffer_store_dword v0, off, s[0:3], 0
	buffer_store_dword v1, off, s[0:3], 0 offset:4
	buffer_store_dword v2, off, s[0:3], 0 offset:8
	;; [unrolled: 1-line block ×3, first 2 shown]
	buffer_load_dword v4, off, s[0:3], 0 offset:112
	buffer_load_dword v6, off, s[0:3], 0 offset:416
	;; [unrolled: 1-line block ×3, first 2 shown]
	s_waitcnt vmcnt(2)
	v_ashrrev_i32_e32 v5, 31, v4
	s_waitcnt vmcnt(1)
	v_add_co_u32_e32 v8, vcc, v6, v4
	s_waitcnt vmcnt(0)
	v_addc_co_u32_e32 v9, vcc, v7, v5, vcc
	flat_load_dwordx4 v[4:7], v[8:9]
	s_waitcnt vmcnt(0) lgkmcnt(0)
	buffer_store_dword v4, off, s[0:3], 0 offset:32
	buffer_store_dword v5, off, s[0:3], 0 offset:36
	;; [unrolled: 1-line block ×4, first 2 shown]
	flat_load_dwordx4 v[8:11], v[8:9] offset:256
	s_waitcnt vmcnt(0) lgkmcnt(0)
	buffer_store_dword v8, off, s[0:3], 0 offset:48
	buffer_store_dword v9, off, s[0:3], 0 offset:52
	;; [unrolled: 1-line block ×4, first 2 shown]
	flat_load_dwordx4 v[12:15], v[12:13] offset:256
	s_waitcnt vmcnt(0) lgkmcnt(0)
	buffer_store_dword v12, off, s[0:3], 0 offset:16
	buffer_store_dword v13, off, s[0:3], 0 offset:20
	;; [unrolled: 1-line block ×4, first 2 shown]
	buffer_load_dword v12, off, s[0:3], 0 offset:144
	s_waitcnt vmcnt(0)
	v_dot4c_i32_i8_e32 v12, v0, v4
	s_nop 2
	buffer_store_dword v12, off, s[0:3], 0 offset:144
	buffer_load_dword v12, off, s[0:3], 0 offset:148
	s_waitcnt vmcnt(0)
	v_dot4c_i32_i8_e32 v12, v0, v5
	s_nop 2
	buffer_store_dword v12, off, s[0:3], 0 offset:148
	;; [unrolled: 5-line block ×12, first 2 shown]
	buffer_load_dword v12, off, s[0:3], 0 offset:240
	s_waitcnt vmcnt(0)
	v_dot4c_i32_i8_e32 v12, v3, v4
	buffer_load_dword v4, off, s[0:3], 0 offset:244
	s_waitcnt vmcnt(0)
	v_dot4c_i32_i8_e32 v4, v3, v5
	s_nop 2
	buffer_store_dword v4, off, s[0:3], 0 offset:244
	buffer_load_dword v4, off, s[0:3], 0 offset:248
	v_mov_b32_e32 v5, s87
	buffer_store_dword v12, off, s[0:3], 0 offset:240
	s_waitcnt vmcnt(1)
	v_dot4c_i32_i8_e32 v4, v3, v6
	s_nop 2
	buffer_store_dword v4, off, s[0:3], 0 offset:248
	buffer_load_dword v4, off, s[0:3], 0 offset:252
	v_mov_b32_e32 v6, s91
	s_waitcnt vmcnt(0)
	v_dot4c_i32_i8_e32 v4, v3, v7
	s_nop 2
	buffer_store_dword v4, off, s[0:3], 0 offset:252
	buffer_load_dword v4, off, s[0:3], 0 offset:160
	v_mov_b32_e32 v7, s63
	s_waitcnt vmcnt(0)
	v_dot4c_i32_i8_e32 v4, v0, v8
	s_nop 2
	buffer_store_dword v4, off, s[0:3], 0 offset:160
	buffer_load_dword v4, off, s[0:3], 0 offset:164
	s_waitcnt vmcnt(0)
	v_dot4c_i32_i8_e32 v4, v0, v9
	s_nop 2
	buffer_store_dword v4, off, s[0:3], 0 offset:164
	buffer_load_dword v4, off, s[0:3], 0 offset:168
	;; [unrolled: 5-line block ×3, first 2 shown]
	s_waitcnt vmcnt(0)
	v_dot4c_i32_i8_e32 v4, v0, v11
	buffer_load_dword v0, off, s[0:3], 0 offset:192
	s_waitcnt vmcnt(0)
	v_dot4c_i32_i8_e32 v0, v1, v8
	s_nop 2
	buffer_store_dword v0, off, s[0:3], 0 offset:192
	buffer_load_dword v0, off, s[0:3], 0 offset:196
	s_waitcnt vmcnt(0)
	v_dot4c_i32_i8_e32 v0, v1, v9
	s_nop 2
	buffer_store_dword v0, off, s[0:3], 0 offset:196
	;; [unrolled: 5-line block ×4, first 2 shown]
	buffer_load_dword v0, off, s[0:3], 0 offset:224
	v_mov_b32_e32 v1, s49
	buffer_store_dword v4, off, s[0:3], 0 offset:172
	v_mov_b32_e32 v4, s86
	s_waitcnt vmcnt(1)
	v_dot4c_i32_i8_e32 v0, v2, v8
	s_nop 2
	buffer_store_dword v0, off, s[0:3], 0 offset:224
	buffer_load_dword v0, off, s[0:3], 0 offset:228
	s_waitcnt vmcnt(0)
	v_dot4c_i32_i8_e32 v0, v2, v9
	s_nop 2
	buffer_store_dword v0, off, s[0:3], 0 offset:228
	buffer_load_dword v0, off, s[0:3], 0 offset:232
	;; [unrolled: 5-line block ×4, first 2 shown]
	v_mov_b32_e32 v2, s76
	s_waitcnt vmcnt(0)
	v_dot4c_i32_i8_e32 v0, v3, v8
	s_nop 2
	buffer_store_dword v0, off, s[0:3], 0 offset:256
	buffer_load_dword v0, off, s[0:3], 0 offset:260
	v_mov_b32_e32 v8, s36
	s_waitcnt vmcnt(0)
	v_dot4c_i32_i8_e32 v0, v3, v9
	s_nop 2
	buffer_store_dword v0, off, s[0:3], 0 offset:260
	buffer_load_dword v0, off, s[0:3], 0 offset:264
	;; [unrolled: 6-line block ×3, first 2 shown]
	v_mov_b32_e32 v10, s79
	s_waitcnt vmcnt(0)
	v_dot4c_i32_i8_e32 v0, v3, v11
	s_nop 2
	buffer_store_dword v0, off, s[0:3], 0 offset:268
	v_mov_b32_e32 v0, s42
	v_mov_b32_e32 v3, s80
	v_mov_b32_e32 v11, s78
	s_swappc_b64 s[30:31], s[50:51]
	buffer_load_dword v0, off, s[0:3], 0 offset:32
	buffer_load_dword v1, off, s[0:3], 0 offset:36
	;; [unrolled: 1-line block ×12, first 2 shown]
	s_waitcnt vmcnt(5)
	v_dot4c_i32_i8_e32 v6, v4, v0
	s_nop 2
	buffer_store_dword v6, off, s[0:3], 0 offset:272
	buffer_load_dword v6, off, s[0:3], 0 offset:312
	s_waitcnt vmcnt(6)
	v_dot4c_i32_i8_e32 v7, v4, v1
	s_waitcnt vmcnt(5)
	v_dot4c_i32_i8_e32 v8, v4, v2
	s_waitcnt vmcnt(4)
	v_dot4c_i32_i8_e32 v9, v4, v3
	s_waitcnt vmcnt(3)
	v_dot4c_i32_i8_e32 v10, v5, v0
	s_waitcnt vmcnt(2)
	v_dot4c_i32_i8_e32 v11, v5, v1
	buffer_store_dword v7, off, s[0:3], 0 offset:276
	buffer_store_dword v8, off, s[0:3], 0 offset:280
	;; [unrolled: 1-line block ×5, first 2 shown]
	s_waitcnt vmcnt(5)
	v_dot4c_i32_i8_e32 v6, v5, v2
	s_nop 2
	buffer_store_dword v6, off, s[0:3], 0 offset:312
	buffer_load_dword v6, off, s[0:3], 0 offset:316
	s_waitcnt vmcnt(0)
	v_dot4c_i32_i8_e32 v6, v5, v3
	s_nop 2
	buffer_store_dword v6, off, s[0:3], 0 offset:316
	buffer_load_dword v6, off, s[0:3], 0 offset:24
	s_nop 0
	buffer_load_dword v7, off, s[0:3], 0 offset:336
	s_waitcnt vmcnt(0)
	v_dot4c_i32_i8_e32 v7, v6, v0
	s_nop 2
	buffer_store_dword v7, off, s[0:3], 0 offset:336
	buffer_load_dword v7, off, s[0:3], 0 offset:340
	s_waitcnt vmcnt(0)
	v_dot4c_i32_i8_e32 v7, v6, v1
	s_nop 2
	buffer_store_dword v7, off, s[0:3], 0 offset:340
	;; [unrolled: 5-line block ×4, first 2 shown]
	buffer_load_dword v7, off, s[0:3], 0 offset:28
	s_nop 0
	buffer_load_dword v8, off, s[0:3], 0 offset:368
	s_waitcnt vmcnt(0)
	v_dot4c_i32_i8_e32 v8, v7, v0
	buffer_load_dword v0, off, s[0:3], 0 offset:372
	s_waitcnt vmcnt(0)
	v_dot4c_i32_i8_e32 v0, v7, v1
	s_nop 2
	buffer_store_dword v0, off, s[0:3], 0 offset:372
	buffer_load_dword v0, off, s[0:3], 0 offset:376
	s_waitcnt vmcnt(0)
	v_dot4c_i32_i8_e32 v0, v7, v2
	s_nop 2
	buffer_store_dword v0, off, s[0:3], 0 offset:376
	buffer_load_dword v0, off, s[0:3], 0 offset:380
	s_waitcnt vmcnt(0)
	v_dot4c_i32_i8_e32 v0, v7, v3
	buffer_store_dword v8, off, s[0:3], 0 offset:368
	s_nop 1
	buffer_store_dword v0, off, s[0:3], 0 offset:380
	buffer_load_dword v0, off, s[0:3], 0 offset:48
	s_nop 0
	buffer_load_dword v1, off, s[0:3], 0 offset:288
	s_waitcnt vmcnt(0)
	v_dot4c_i32_i8_e32 v1, v4, v0
	s_nop 2
	buffer_store_dword v1, off, s[0:3], 0 offset:288
	buffer_load_dword v1, off, s[0:3], 0 offset:52
	s_nop 0
	buffer_load_dword v2, off, s[0:3], 0 offset:292
	s_waitcnt vmcnt(0)
	v_dot4c_i32_i8_e32 v2, v4, v1
	;; [unrolled: 7-line block ×4, first 2 shown]
	buffer_load_dword v4, off, s[0:3], 0 offset:320
	s_waitcnt vmcnt(0)
	v_dot4c_i32_i8_e32 v4, v5, v0
	s_nop 2
	buffer_store_dword v4, off, s[0:3], 0 offset:320
	buffer_load_dword v4, off, s[0:3], 0 offset:324
	s_waitcnt vmcnt(0)
	v_dot4c_i32_i8_e32 v4, v5, v1
	s_nop 2
	buffer_store_dword v4, off, s[0:3], 0 offset:324
	;; [unrolled: 5-line block ×8, first 2 shown]
	buffer_load_dword v4, off, s[0:3], 0 offset:384
	s_waitcnt vmcnt(0)
	v_dot4c_i32_i8_e32 v4, v7, v0
	buffer_load_dword v0, off, s[0:3], 0 offset:388
	s_waitcnt vmcnt(0)
	v_dot4c_i32_i8_e32 v0, v7, v1
	s_nop 2
	buffer_store_dword v0, off, s[0:3], 0 offset:388
	buffer_load_dword v0, off, s[0:3], 0 offset:392
	v_perm_b32 v1, v88, v88, s99
	buffer_store_dword v8, off, s[0:3], 0 offset:300
	buffer_store_dword v4, off, s[0:3], 0 offset:384
	s_waitcnt vmcnt(2)
	v_dot4c_i32_i8_e32 v0, v7, v2
	s_nop 2
	buffer_store_dword v0, off, s[0:3], 0 offset:392
	buffer_load_dword v0, off, s[0:3], 0 offset:396
	s_waitcnt vmcnt(0)
	v_dot4c_i32_i8_e32 v0, v7, v3
	s_nop 2
	buffer_store_dword v0, off, s[0:3], 0 offset:396
	buffer_load_dword v0, off, s[0:3], 0 offset:432
	s_nop 0
	buffer_load_dword v6, off, s[0:3], 0 offset:436
	s_waitcnt vmcnt(1)
	v_add_co_u32_e32 v2, vcc, v0, v34
	s_waitcnt vmcnt(0)
	v_addc_co_u32_e32 v3, vcc, 0, v6, vcc
	flat_store_dword v[2:3], v1
	flat_store_dword v[2:3], v59 offset:512
	v_perm_b32 v1, v38, v38, s99
	flat_store_dword v[2:3], v1 offset:1024
	flat_store_dword v[2:3], v37 offset:1536
	v_perm_b32 v1, v87, v87, s99
	flat_store_dword v[2:3], v1 offset:2048
	;; [unrolled: 3-line block ×3, first 2 shown]
	flat_store_dword v[2:3], v84 offset:3584
	buffer_load_dword v7, off, s[0:3], 0 offset:448
	buffer_load_dword v8, off, s[0:3], 0 offset:452
	v_lshrrev_b32_e32 v1, s60, v73
	v_lshrrev_b32_e32 v59, s60, v69
	s_waitcnt vmcnt(0)
	v_add_co_u32_e32 v2, vcc, v7, v34
	v_addc_co_u32_e32 v3, vcc, 0, v8, vcc
	flat_store_dword v[2:3], v79
	flat_store_dword v[2:3], v67 offset:512
	flat_store_dword v[2:3], v78 offset:1024
	;; [unrolled: 1-line block ×7, first 2 shown]
	v_mul_lo_u32 v2, v1, s16
	v_sub_u32_e32 v9, v71, v2
	v_sub_u32_e32 v2, v1, v60
	;; [unrolled: 1-line block ×3, first 2 shown]
	v_mul_lo_u32 v2, v2, s59
	v_mul_lo_u32 v3, v3, s98
	v_add_u32_e32 v10, v2, v81
	v_mul_lo_u32 v2, v2, s53
	v_add_u32_e32 v11, v3, v82
	v_mul_lo_u32 v3, v3, s54
	v_add3_u32 v2, v70, v72, v2
	v_add3_u32 v12, v2, v3, v83
	buffer_load_dwordx4 v[2:5], v12, s[68:71], 0 offen
	v_cmp_le_i32_e32 vcc, s40, v11
	v_cmp_gt_i32_e64 s[4:5], s81, v11
	s_and_b64 s[4:5], vcc, s[4:5]
	s_and_b64 s[12:13], s[12:13], s[4:5]
	v_cmp_le_i32_e32 vcc, s37, v10
	v_cmp_gt_i32_e64 s[4:5], s83, v10
	s_and_b64 s[4:5], vcc, s[4:5]
	s_and_b64 s[4:5], s[4:5], s[12:13]
	s_and_b64 vcc, s[8:9], s[4:5]
	v_sub_u32_e32 v1, v59, v1
	v_mul_lo_u32 v1, v1, s59
	v_add_u32_e32 v38, v1, v10
	v_mul_lo_u32 v1, v1, s44
	v_cmp_le_i32_e64 s[4:5], s43, v44
	v_cmp_gt_i32_e64 s[12:13], s85, v44
	s_and_b64 s[4:5], s[4:5], s[12:13]
	s_waitcnt vmcnt(0)
	v_cndmask_b32_e32 v71, 0, v2, vcc
	v_mul_lo_u32 v2, v59, s16
	v_sub_u32_e32 v60, v68, v2
	v_sub_u32_e32 v2, v60, v9
	v_cndmask_b32_e32 v67, 0, v4, vcc
	v_cndmask_b32_e32 v70, 0, v3, vcc
	v_mul_lo_u32 v2, v2, s98
	v_mul_lo_u32 v3, v65, s55
	;; [unrolled: 1-line block ×3, first 2 shown]
	v_add_u32_e32 v37, v2, v11
	v_mul_lo_u32 v2, v2, s45
	v_add3_u32 v1, v3, v4, v1
	v_add3_u32 v64, v1, v2, v12
	v_cndmask_b32_e32 v66, 0, v5, vcc
	buffer_load_dwordx4 v[2:5], v64, s[68:71], 0 offen
	v_cmp_gt_i32_e32 vcc, s19, v63
	s_and_b64 s[12:13], vcc, s[4:5]
	v_cmp_le_i32_e32 vcc, s40, v37
	v_cmp_gt_i32_e64 s[4:5], s81, v37
	s_and_b64 s[4:5], vcc, s[4:5]
	s_and_b64 s[12:13], s[12:13], s[4:5]
	v_cmp_le_i32_e32 vcc, s37, v38
	v_cmp_gt_i32_e64 s[4:5], s83, v38
	s_and_b64 s[4:5], vcc, s[4:5]
	s_and_b64 s[4:5], s[4:5], s[12:13]
	s_and_b64 vcc, s[8:9], s[4:5]
	v_add_u32_e32 v1, s21, v46
	s_waitcnt vmcnt(0)
	v_cndmask_b32_e32 v63, 0, v5, vcc
	v_cndmask_b32_e32 v65, 0, v4, vcc
	;; [unrolled: 1-line block ×4, first 2 shown]
	buffer_load_dwordx4 v[2:5], v61, s[64:67], 0 offen
	v_cmp_gt_i32_e32 vcc, s77, v62
	s_and_b64 vcc, s[10:11], vcc
	s_waitcnt vmcnt(0)
	v_cndmask_b32_e32 v75, 0, v2, vcc
	v_add_u32_e32 v2, v46, v43
	v_cndmask_b32_e32 v61, 0, v5, vcc
	v_cndmask_b32_e32 v68, 0, v4, vcc
	;; [unrolled: 1-line block ×3, first 2 shown]
	buffer_load_dwordx4 v[2:5], v2, s[64:67], 0 offen
	s_waitcnt lgkmcnt(0)
	s_barrier
	buffer_store_dword v42, off, s[0:3], 0
	buffer_store_dword v42, off, s[0:3], 0 offset:4
	buffer_store_dword v42, off, s[0:3], 0 offset:8
	;; [unrolled: 1-line block ×15, first 2 shown]
	v_cmp_gt_i32_e32 vcc, s77, v1
	buffer_load_dword v1, off, s[0:3], 0 offset:80
	s_and_b64 vcc, s[10:11], vcc
	s_waitcnt vmcnt(17)
	v_cndmask_b32_e32 v72, 0, v5, vcc
	v_cndmask_b32_e32 v76, 0, v4, vcc
	;; [unrolled: 1-line block ×4, first 2 shown]
	s_waitcnt vmcnt(0)
	v_ashrrev_i32_e32 v2, 31, v1
	v_add_co_u32_e32 v12, vcc, v0, v1
	v_addc_co_u32_e32 v13, vcc, v6, v2, vcc
	flat_load_dwordx4 v[0:3], v[12:13]
	s_waitcnt vmcnt(0) lgkmcnt(0)
	buffer_store_dword v0, off, s[0:3], 0
	buffer_store_dword v1, off, s[0:3], 0 offset:4
	buffer_store_dword v2, off, s[0:3], 0 offset:8
	buffer_store_dword v3, off, s[0:3], 0 offset:12
	buffer_load_dword v4, off, s[0:3], 0 offset:112
	s_waitcnt vmcnt(0)
	v_ashrrev_i32_e32 v5, 31, v4
	v_add_co_u32_e32 v4, vcc, v7, v4
	v_addc_co_u32_e32 v5, vcc, v8, v5, vcc
	flat_load_dwordx4 v[8:11], v[4:5]
	s_waitcnt vmcnt(0) lgkmcnt(0)
	buffer_store_dword v8, off, s[0:3], 0 offset:32
	buffer_store_dword v9, off, s[0:3], 0 offset:36
	;; [unrolled: 1-line block ×4, first 2 shown]
	flat_load_dwordx4 v[4:7], v[4:5] offset:256
	s_waitcnt vmcnt(0) lgkmcnt(0)
	buffer_store_dword v4, off, s[0:3], 0 offset:48
	buffer_store_dword v5, off, s[0:3], 0 offset:52
	;; [unrolled: 1-line block ×4, first 2 shown]
	flat_load_dwordx4 v[12:15], v[12:13] offset:256
	s_waitcnt vmcnt(0) lgkmcnt(0)
	buffer_store_dword v12, off, s[0:3], 0 offset:16
	buffer_store_dword v13, off, s[0:3], 0 offset:20
	;; [unrolled: 1-line block ×4, first 2 shown]
	buffer_load_dword v12, off, s[0:3], 0 offset:144
	s_waitcnt vmcnt(0)
	v_dot4c_i32_i8_e32 v12, v0, v8
	s_nop 2
	buffer_store_dword v12, off, s[0:3], 0 offset:144
	buffer_load_dword v12, off, s[0:3], 0 offset:148
	s_waitcnt vmcnt(0)
	v_dot4c_i32_i8_e32 v12, v0, v9
	s_nop 2
	buffer_store_dword v12, off, s[0:3], 0 offset:148
	;; [unrolled: 5-line block ×12, first 2 shown]
	buffer_load_dword v12, off, s[0:3], 0 offset:240
	s_waitcnt vmcnt(0)
	v_dot4c_i32_i8_e32 v12, v3, v8
	buffer_load_dword v8, off, s[0:3], 0 offset:244
	s_waitcnt vmcnt(0)
	v_dot4c_i32_i8_e32 v8, v3, v9
	s_nop 2
	buffer_store_dword v8, off, s[0:3], 0 offset:244
	buffer_load_dword v8, off, s[0:3], 0 offset:248
	v_mov_b32_e32 v9, s41
	buffer_store_dword v12, off, s[0:3], 0 offset:240
	s_waitcnt vmcnt(1)
	v_dot4c_i32_i8_e32 v8, v3, v10
	s_nop 2
	buffer_store_dword v8, off, s[0:3], 0 offset:248
	buffer_load_dword v8, off, s[0:3], 0 offset:252
	v_mov_b32_e32 v10, s48
	s_waitcnt vmcnt(0)
	v_dot4c_i32_i8_e32 v8, v3, v11
	s_nop 2
	buffer_store_dword v8, off, s[0:3], 0 offset:252
	buffer_load_dword v8, off, s[0:3], 0 offset:160
	v_mov_b32_e32 v11, s73
	s_waitcnt vmcnt(0)
	v_dot4c_i32_i8_e32 v8, v0, v4
	s_nop 2
	buffer_store_dword v8, off, s[0:3], 0 offset:160
	buffer_load_dword v8, off, s[0:3], 0 offset:164
	s_waitcnt vmcnt(0)
	v_dot4c_i32_i8_e32 v8, v0, v5
	s_nop 2
	buffer_store_dword v8, off, s[0:3], 0 offset:164
	buffer_load_dword v8, off, s[0:3], 0 offset:168
	;; [unrolled: 5-line block ×3, first 2 shown]
	s_waitcnt vmcnt(0)
	v_dot4c_i32_i8_e32 v8, v0, v7
	buffer_load_dword v0, off, s[0:3], 0 offset:192
	s_waitcnt vmcnt(0)
	v_dot4c_i32_i8_e32 v0, v1, v4
	s_nop 2
	buffer_store_dword v0, off, s[0:3], 0 offset:192
	buffer_load_dword v0, off, s[0:3], 0 offset:196
	s_waitcnt vmcnt(0)
	v_dot4c_i32_i8_e32 v0, v1, v5
	s_nop 2
	buffer_store_dword v0, off, s[0:3], 0 offset:196
	;; [unrolled: 5-line block ×4, first 2 shown]
	buffer_load_dword v0, off, s[0:3], 0 offset:224
	v_mov_b32_e32 v1, s49
	buffer_store_dword v8, off, s[0:3], 0 offset:172
	v_mov_b32_e32 v8, s36
	s_waitcnt vmcnt(1)
	v_dot4c_i32_i8_e32 v0, v2, v4
	s_nop 2
	buffer_store_dword v0, off, s[0:3], 0 offset:224
	buffer_load_dword v0, off, s[0:3], 0 offset:228
	s_waitcnt vmcnt(0)
	v_dot4c_i32_i8_e32 v0, v2, v5
	s_nop 2
	buffer_store_dword v0, off, s[0:3], 0 offset:228
	buffer_load_dword v0, off, s[0:3], 0 offset:232
	;; [unrolled: 5-line block ×4, first 2 shown]
	v_mov_b32_e32 v2, s74
	s_waitcnt vmcnt(0)
	v_dot4c_i32_i8_e32 v0, v3, v4
	s_nop 2
	buffer_store_dword v0, off, s[0:3], 0 offset:256
	buffer_load_dword v0, off, s[0:3], 0 offset:260
	v_mov_b32_e32 v4, s86
	s_waitcnt vmcnt(0)
	v_dot4c_i32_i8_e32 v0, v3, v5
	s_nop 2
	buffer_store_dword v0, off, s[0:3], 0 offset:260
	buffer_load_dword v0, off, s[0:3], 0 offset:264
	;; [unrolled: 6-line block ×3, first 2 shown]
	v_mov_b32_e32 v6, s91
	s_waitcnt vmcnt(0)
	v_dot4c_i32_i8_e32 v0, v3, v7
	s_nop 2
	buffer_store_dword v0, off, s[0:3], 0 offset:268
	v_mov_b32_e32 v0, s42
	v_mov_b32_e32 v3, s75
	;; [unrolled: 1-line block ×3, first 2 shown]
	s_swappc_b64 s[30:31], s[50:51]
	buffer_load_dword v0, off, s[0:3], 0 offset:32
	buffer_load_dword v1, off, s[0:3], 0 offset:36
	;; [unrolled: 1-line block ×46, first 2 shown]
	s_add_i32 s56, s56, 32
	s_add_i32 s21, s21, s72
	;; [unrolled: 1-line block ×3, first 2 shown]
	v_add_u32_e32 v43, s72, v43
	v_add_u32_e32 v58, s92, v58
	;; [unrolled: 1-line block ×4, first 2 shown]
	v_subrev_u32_e32 v53, s92, v53
	s_cmp_lt_i32 s56, s52
	v_add_u32_e32 v55, s92, v55
	s_waitcnt vmcnt(39)
	v_dot4c_i32_i8_e32 v6, v4, v0
	s_waitcnt vmcnt(38)
	v_dot4c_i32_i8_e32 v7, v4, v1
	;; [unrolled: 2-line block ×15, first 2 shown]
	v_perm_b32 v2, v71, v71, s99
	s_waitcnt vmcnt(22)
	v_dot4c_i32_i8_e32 v25, v21, v3
	v_perm_b32 v3, v68, v68, s99
	s_waitcnt vmcnt(17)
	v_dot4c_i32_i8_e32 v30, v4, v26
	s_waitcnt vmcnt(16)
	v_dot4c_i32_i8_e32 v31, v4, v29
	;; [unrolled: 2-line block ×16, first 2 shown]
	buffer_store_dword v6, off, s[0:3], 0 offset:272
	buffer_store_dword v7, off, s[0:3], 0 offset:276
	;; [unrolled: 1-line block ×18, first 2 shown]
	s_waitcnt vmcnt(18)
	v_add_co_u32_e32 v0, vcc, v17, v34
	v_addc_co_u32_e32 v1, vcc, 0, v16, vcc
	buffer_store_dword v32, off, s[0:3], 0 offset:296
	buffer_store_dword v33, off, s[0:3], 0 offset:300
	;; [unrolled: 1-line block ×14, first 2 shown]
	flat_store_dword v[0:1], v2
	flat_store_dword v[0:1], v70 offset:512
	v_perm_b32 v2, v67, v67, s99
	flat_store_dword v[0:1], v2 offset:1024
	flat_store_dword v[0:1], v66 offset:1536
	v_perm_b32 v2, v73, v73, s99
	flat_store_dword v[0:1], v2 offset:2048
	;; [unrolled: 3-line block ×3, first 2 shown]
	flat_store_dword v[0:1], v63 offset:3584
	buffer_load_dword v18, off, s[0:3], 0 offset:416
	buffer_load_dword v19, off, s[0:3], 0 offset:420
	v_perm_b32 v2, v75, v75, s99
	v_perm_b32 v4, v77, v77, s99
	;; [unrolled: 1-line block ×3, first 2 shown]
	s_waitcnt vmcnt(0)
	v_add_co_u32_e32 v0, vcc, v18, v34
	v_addc_co_u32_e32 v1, vcc, 0, v19, vcc
	flat_store_dword v[0:1], v2
	flat_store_dword v[0:1], v62 offset:512
	flat_store_dword v[0:1], v3 offset:1024
	;; [unrolled: 1-line block ×7, first 2 shown]
	s_cbranch_scc1 .LBB10_1
; %bb.2:
	s_waitcnt lgkmcnt(0)
	s_barrier
	buffer_load_dword v20, off, s[0:3], 0 offset:80
	s_load_dwordx2 s[6:7], s[6:7], 0x10
	v_readlane_b32 s12, v90, 0
	v_readlane_b32 s14, v90, 9
	;; [unrolled: 1-line block ×3, first 2 shown]
	s_add_u32 s24, s12, s14
	v_readlane_b32 s12, v90, 2
	s_addc_u32 s25, s13, s12
	s_mul_i32 s12, s28, s90
	s_mul_hi_u32 s13, s28, s89
	s_add_i32 s12, s13, s12
	s_mul_i32 s13, s29, s89
	s_add_i32 s12, s12, s13
	s_mul_i32 s13, s28, s89
	s_mul_i32 s5, s23, 12
	s_waitcnt lgkmcnt(0)
	s_add_u32 s44, s6, s13
	s_addc_u32 s45, s7, s12
	s_add_i32 s5, s5, s95
	v_add_u32_e32 v30, s5, v45
	v_mul_hi_u32 v0, v30, s22
	v_add_u32_e32 v0, v30, v0
	v_lshrrev_b32_e32 v1, s62, v0
	v_mul_hi_u32 v2, v1, s94
	v_add_u32_e32 v2, v1, v2
	v_lshrrev_b32_e32 v4, s61, v2
	v_mul_hi_u32 v5, v4, s20
	v_add_u32_e32 v5, v4, v5
	v_mul_lo_u32 v2, v4, s17
	v_lshrrev_b32_e32 v5, s60, v5
	v_mul_lo_u32 v0, v1, s18
	v_sub_u32_e32 v2, v1, v2
	v_mul_lo_u32 v6, v5, s16
	v_sub_u32_e32 v0, v30, v0
	v_sub_u32_e32 v1, v2, v36
	;; [unrolled: 1-line block ×4, first 2 shown]
	v_readlane_b32 s12, v90, 10
	v_sub_u32_e32 v3, v0, v35
	v_sub_u32_e32 v6, v4, v60
	v_mul_lo_u32 v31, v1, s84
	v_mul_lo_u32 v33, v7, s12
	v_mul_lo_u32 v32, v6, s58
	v_mul_lo_u32 v1, v33, s53
	v_mul_lo_u32 v7, v31, s55
	v_mul_lo_u32 v3, v3, s88
	v_readlane_b32 s5, v90, 4
	v_mul_lo_u32 v6, v32, s54
	v_add3_u32 v1, v7, v3, v1
	v_add_u32_e32 v36, s5, v30
	v_add3_u32 v3, v1, v6, v64
	v_mul_hi_u32 v1, v36, s22
	v_add_u32_e32 v1, v36, v1
	v_lshrrev_b32_e32 v6, s62, v1
	v_mad_u64_u32 v[0:1], s[6:7], v6, s18, v[0:1]
	v_sub_u32_e32 v7, v36, v0
	v_mul_hi_u32 v0, v6, s94
	v_add_u32_e32 v0, v6, v0
	v_lshrrev_b32_e32 v9, s61, v0
	v_mad_u64_u32 v[0:1], s[6:7], v9, s17, v[2:3]
	v_sub_u32_e32 v2, v6, v0
	;; [unrolled: 5-line block ×3, first 2 shown]
	s_mul_i32 s4, s93, 12
	v_sub_u32_e32 v0, v9, v0
	v_mul_lo_u32 v42, v2, s84
	v_mul_lo_u32 v45, v1, s12
	v_add3_u32 v8, v41, v43, s4
	v_mul_lo_u32 v43, v0, s58
	v_mul_lo_u32 v0, v45, s53
	;; [unrolled: 1-line block ×5, first 2 shown]
	v_add3_u32 v0, v2, v4, v0
	v_mov_b32_e32 v35, 0
	v_add3_u32 v0, v0, v1, v3
	v_add_u32_e32 v9, s82, v8
	buffer_load_dwordx4 v[4:7], v3, s[68:71], 0 offen
	s_nop 0
	buffer_load_dwordx4 v[0:3], v0, s[68:71], 0 offen
	s_nop 0
	;; [unrolled: 2-line block ×4, first 2 shown]
	buffer_store_dword v35, off, s[0:3], 0
	buffer_store_dword v35, off, s[0:3], 0 offset:4
	buffer_store_dword v35, off, s[0:3], 0 offset:8
	;; [unrolled: 1-line block ×15, first 2 shown]
	s_waitcnt vmcnt(0)
	v_ashrrev_i32_e32 v21, 31, v20
	v_add_co_u32_e32 v28, vcc, v17, v20
	buffer_load_dword v46, off, s[0:3], 0 offset:160
	buffer_load_dword v47, off, s[0:3], 0 offset:164
	;; [unrolled: 1-line block ×5, first 2 shown]
	v_addc_co_u32_e32 v29, vcc, v16, v21, vcc
	flat_load_dwordx4 v[20:23], v[28:29]
	buffer_load_dword v50, off, s[0:3], 0 offset:192
	buffer_load_dword v51, off, s[0:3], 0 offset:196
	;; [unrolled: 1-line block ×3, first 2 shown]
	s_add_i32 s4, s4, s21
	v_add_u32_e32 v41, s4, v41
	v_readlane_b32 s13, v90, 11
	v_readlane_b32 s14, v90, 12
	;; [unrolled: 1-line block ×3, first 2 shown]
	v_cmp_gt_i32_e64 s[6:7], s19, v36
	v_cmp_gt_i32_e64 s[4:5], s77, v41
	s_mov_b64 s[22:23], src_private_base
	s_waitcnt vmcnt(0) lgkmcnt(0)
	buffer_store_dword v20, off, s[0:3], 0
	buffer_store_dword v21, off, s[0:3], 0 offset:4
	buffer_store_dword v22, off, s[0:3], 0 offset:8
	;; [unrolled: 1-line block ×3, first 2 shown]
	v_ashrrev_i32_e32 v16, 31, v24
	v_add_co_u32_e32 v24, vcc, v18, v24
	v_addc_co_u32_e32 v25, vcc, v19, v16, vcc
	flat_load_dwordx4 v[16:19], v[24:25]
	v_cmp_gt_i32_e32 vcc, s19, v30
	v_add_u32_e32 v30, s82, v41
	v_cmp_gt_i32_e64 s[12:13], s77, v30
	v_add_u32_e32 v30, v31, v44
	v_add_u32_e32 v31, v33, v38
	v_cmp_le_i32_e64 s[14:15], s43, v30
	v_cmp_gt_i32_e64 s[16:17], s85, v30
	v_add_u32_e32 v30, v42, v30
	s_and_b64 s[28:29], s[14:15], s[16:17]
	v_cmp_le_i32_e64 s[14:15], s37, v31
	v_cmp_gt_i32_e64 s[16:17], s83, v31
	v_add_u32_e32 v31, v45, v31
	v_cmp_le_i32_e64 s[18:19], s43, v30
	v_cmp_gt_i32_e64 s[20:21], s85, v30
	v_add_u32_e32 v30, v32, v37
	s_and_b64 s[28:29], vcc, s[28:29]
	s_and_b64 s[30:31], s[14:15], s[16:17]
	s_and_b64 s[20:21], s[18:19], s[20:21]
	v_cmp_le_i32_e32 vcc, s37, v31
	v_cmp_gt_i32_e64 s[14:15], s83, v31
	v_cmp_le_i32_e64 s[16:17], s40, v30
	v_cmp_gt_i32_e64 s[18:19], s81, v30
	v_add_u32_e32 v30, v43, v30
	s_and_b64 s[20:21], s[6:7], s[20:21]
	s_and_b64 s[14:15], vcc, s[14:15]
	v_cmp_le_i32_e32 vcc, s40, v30
	v_cmp_gt_i32_e64 s[6:7], s81, v30
	s_and_b64 s[6:7], vcc, s[6:7]
	s_and_b64 vcc, s[10:11], s[4:5]
	v_cndmask_b32_e32 v36, 0, v15, vcc
	v_cndmask_b32_e32 v37, 0, v14, vcc
	;; [unrolled: 1-line block ×4, first 2 shown]
	s_and_b64 s[16:17], s[16:17], s[18:19]
	s_and_b64 s[16:17], s[28:29], s[16:17]
	;; [unrolled: 1-line block ×4, first 2 shown]
	s_and_b64 vcc, s[10:11], s[12:13]
	s_and_b64 s[6:7], s[14:15], s[6:7]
	v_cndmask_b32_e32 v42, 0, v11, vcc
	v_cndmask_b32_e32 v43, 0, v10, vcc
	;; [unrolled: 1-line block ×4, first 2 shown]
	s_and_b64 vcc, s[8:9], s[16:17]
	v_cndmask_b32_e32 v78, 0, v7, vcc
	v_cndmask_b32_e32 v79, 0, v6, vcc
	v_cndmask_b32_e32 v80, 0, v5, vcc
	v_cndmask_b32_e32 v81, 0, v4, vcc
	s_and_b64 vcc, s[8:9], s[6:7]
	v_cndmask_b32_e32 v82, 0, v3, vcc
	v_cndmask_b32_e32 v83, 0, v2, vcc
	v_cndmask_b32_e32 v84, 0, v1, vcc
	v_cndmask_b32_e32 v85, 0, v0, vcc
	v_mov_b32_e32 v0, s42
	v_mov_b32_e32 v1, s49
	;; [unrolled: 1-line block ×9, first 2 shown]
	s_waitcnt vmcnt(0) lgkmcnt(0)
	buffer_store_dword v16, off, s[0:3], 0 offset:32
	buffer_store_dword v17, off, s[0:3], 0 offset:36
	;; [unrolled: 1-line block ×4, first 2 shown]
	flat_load_dwordx4 v[24:27], v[24:25] offset:256
	s_nop 0
	buffer_load_dword v53, off, s[0:3], 0 offset:144
	buffer_load_dword v54, off, s[0:3], 0 offset:148
	;; [unrolled: 1-line block ×25, first 2 shown]
	v_mov_b32_e32 v5, s23
	v_mov_b32_e32 v7, s23
	;; [unrolled: 1-line block ×3, first 2 shown]
	v_dot4c_i32_i8_e32 v49, v20, v19
	v_dot4c_i32_i8_e32 v52, v21, v19
	s_waitcnt vmcnt(0) lgkmcnt(0)
	buffer_store_dword v24, off, s[0:3], 0 offset:48
	buffer_store_dword v25, off, s[0:3], 0 offset:52
	;; [unrolled: 1-line block ×4, first 2 shown]
	flat_load_dwordx4 v[12:15], v[28:29] offset:256
	v_dot4c_i32_i8_e32 v53, v20, v16
	v_dot4c_i32_i8_e32 v54, v20, v17
	;; [unrolled: 1-line block ×30, first 2 shown]
	buffer_store_dword v53, off, s[0:3], 0 offset:144
	buffer_store_dword v54, off, s[0:3], 0 offset:148
	;; [unrolled: 1-line block ×32, first 2 shown]
	s_waitcnt vmcnt(0) lgkmcnt(0)
	buffer_store_dword v12, off, s[0:3], 0 offset:16
	buffer_store_dword v13, off, s[0:3], 0 offset:20
	;; [unrolled: 1-line block ×4, first 2 shown]
	s_swappc_b64 s[30:31], s[50:51]
	buffer_load_dword v0, off, s[0:3], 0 offset:32
	buffer_load_dword v1, off, s[0:3], 0 offset:36
	;; [unrolled: 1-line block ×46, first 2 shown]
	s_mov_b32 s4, 0x3020104
	s_waitcnt vmcnt(39)
	v_dot4c_i32_i8_e32 v6, v4, v0
	s_waitcnt vmcnt(38)
	v_dot4c_i32_i8_e32 v7, v4, v1
	;; [unrolled: 2-line block ×15, first 2 shown]
	v_perm_b32 v2, v81, v81, s4
	s_waitcnt vmcnt(22)
	v_dot4c_i32_i8_e32 v23, v19, v3
	v_perm_b32 v3, v37, v37, s4
	s_waitcnt vmcnt(17)
	v_dot4c_i32_i8_e32 v28, v4, v24
	s_waitcnt vmcnt(16)
	v_dot4c_i32_i8_e32 v29, v4, v27
	;; [unrolled: 2-line block ×16, first 2 shown]
	buffer_store_dword v6, off, s[0:3], 0 offset:272
	buffer_store_dword v7, off, s[0:3], 0 offset:276
	;; [unrolled: 1-line block ×18, first 2 shown]
	s_waitcnt vmcnt(18)
	v_add_co_u32_e32 v0, vcc, v57, v34
	v_addc_co_u32_e32 v1, vcc, 0, v56, vcc
	buffer_store_dword v30, off, s[0:3], 0 offset:296
	buffer_store_dword v31, off, s[0:3], 0 offset:300
	;; [unrolled: 1-line block ×14, first 2 shown]
	flat_store_dword v[0:1], v2
	flat_store_dword v[0:1], v80 offset:512
	v_perm_b32 v2, v79, v79, s4
	flat_store_dword v[0:1], v2 offset:1024
	flat_store_dword v[0:1], v78 offset:1536
	v_perm_b32 v2, v85, v85, s4
	flat_store_dword v[0:1], v2 offset:2048
	;; [unrolled: 3-line block ×3, first 2 shown]
	flat_store_dword v[0:1], v82 offset:3584
	buffer_load_dword v4, off, s[0:3], 0 offset:448
	buffer_load_dword v5, off, s[0:3], 0 offset:452
	v_perm_b32 v2, v41, v41, s4
	v_perm_b32 v6, v45, v45, s4
	;; [unrolled: 1-line block ×3, first 2 shown]
	s_waitcnt vmcnt(0)
	v_add_co_u32_e32 v0, vcc, v4, v34
	v_addc_co_u32_e32 v1, vcc, 0, v5, vcc
	flat_store_dword v[0:1], v2
	flat_store_dword v[0:1], v38 offset:512
	flat_store_dword v[0:1], v3 offset:1024
	;; [unrolled: 1-line block ×7, first 2 shown]
	s_waitcnt lgkmcnt(0)
	s_barrier
	buffer_load_dword v0, off, s[0:3], 0 offset:80
	s_nop 0
	buffer_store_dword v35, off, s[0:3], 0
	buffer_store_dword v35, off, s[0:3], 0 offset:4
	buffer_store_dword v35, off, s[0:3], 0 offset:8
	;; [unrolled: 1-line block ×15, first 2 shown]
	buffer_load_dword v6, off, s[0:3], 0 offset:112
	buffer_load_dword v16, off, s[0:3], 0 offset:160
	buffer_load_dword v17, off, s[0:3], 0 offset:164
	buffer_load_dword v18, off, s[0:3], 0 offset:168
	buffer_load_dword v19, off, s[0:3], 0 offset:156
	s_waitcnt vmcnt(0)
	v_ashrrev_i32_e32 v7, 31, v6
	v_ashrrev_i32_e32 v1, 31, v0
	v_add_co_u32_e32 v12, vcc, v57, v0
	v_addc_co_u32_e32 v13, vcc, v56, v1, vcc
	flat_load_dwordx4 v[0:3], v[12:13]
	v_add_co_u32_e32 v8, vcc, v4, v6
	buffer_load_dword v20, off, s[0:3], 0 offset:192
	buffer_load_dword v21, off, s[0:3], 0 offset:196
	;; [unrolled: 1-line block ×3, first 2 shown]
	v_addc_co_u32_e32 v9, vcc, v5, v7, vcc
	s_waitcnt vmcnt(0) lgkmcnt(0)
	buffer_store_dword v0, off, s[0:3], 0
	buffer_store_dword v1, off, s[0:3], 0 offset:4
	buffer_store_dword v2, off, s[0:3], 0 offset:8
	;; [unrolled: 1-line block ×3, first 2 shown]
	flat_load_dwordx4 v[4:7], v[8:9]
	s_waitcnt vmcnt(0) lgkmcnt(0)
	buffer_store_dword v4, off, s[0:3], 0 offset:32
	buffer_store_dword v5, off, s[0:3], 0 offset:36
	;; [unrolled: 1-line block ×4, first 2 shown]
	flat_load_dwordx4 v[8:11], v[8:9] offset:256
	s_nop 0
	buffer_load_dword v23, off, s[0:3], 0 offset:144
	buffer_load_dword v24, off, s[0:3], 0 offset:148
	;; [unrolled: 1-line block ×25, first 2 shown]
	v_dot4c_i32_i8_e32 v19, v0, v7
	v_dot4c_i32_i8_e32 v22, v1, v7
	s_waitcnt vmcnt(0) lgkmcnt(0)
	buffer_store_dword v8, off, s[0:3], 0 offset:48
	buffer_store_dword v9, off, s[0:3], 0 offset:52
	;; [unrolled: 1-line block ×4, first 2 shown]
	flat_load_dwordx4 v[12:15], v[12:13] offset:256
	v_dot4c_i32_i8_e32 v23, v0, v4
	v_dot4c_i32_i8_e32 v24, v0, v5
	;; [unrolled: 1-line block ×30, first 2 shown]
	v_mov_b32_e32 v0, s42
	v_mov_b32_e32 v1, s49
	;; [unrolled: 1-line block ×12, first 2 shown]
	buffer_store_dword v23, off, s[0:3], 0 offset:144
	buffer_store_dword v24, off, s[0:3], 0 offset:148
	;; [unrolled: 1-line block ×32, first 2 shown]
	s_waitcnt vmcnt(0) lgkmcnt(0)
	buffer_store_dword v12, off, s[0:3], 0 offset:16
	buffer_store_dword v13, off, s[0:3], 0 offset:20
	;; [unrolled: 1-line block ×4, first 2 shown]
	s_swappc_b64 s[30:31], s[50:51]
	buffer_load_dword v0, off, s[0:3], 0 offset:32
	buffer_load_dword v1, off, s[0:3], 0 offset:36
	;; [unrolled: 1-line block ×46, first 2 shown]
	v_readlane_b32 s4, v90, 5
	s_mov_b32 s47, 0x20000
	v_readlane_b32 s8, v90, 7
	v_readlane_b32 s11, v90, 6
	s_lshl_b32 s10, s35, 6
	v_readlane_b32 s14, v90, 8
	s_mov_b32 s27, s47
	s_waitcnt vmcnt(40)
	v_dot4c_i32_i8_e32 v5, v4, v0
	s_waitcnt vmcnt(39)
	v_dot4c_i32_i8_e32 v6, v4, v1
	;; [unrolled: 2-line block ×5, first 2 shown]
	v_dot4c_i32_i8_e32 v12, v13, v3
	v_dot4c_i32_i8_e32 v9, v13, v0
	;; [unrolled: 1-line block ×3, first 2 shown]
	s_waitcnt vmcnt(28)
	v_dot4c_i32_i8_e32 v17, v14, v2
	s_waitcnt vmcnt(27)
	v_dot4c_i32_i8_e32 v18, v14, v3
	v_dot4c_i32_i8_e32 v15, v14, v0
	;; [unrolled: 1-line block ×3, first 2 shown]
	s_waitcnt vmcnt(25)
	v_dot4c_i32_i8_e32 v20, v19, v0
	s_waitcnt vmcnt(23)
	v_dot4c_i32_i8_e32 v22, v19, v2
	v_lshl_add_u32 v2, s4, 7, v39
	v_readlane_b32 s4, v90, 3
	s_waitcnt vmcnt(22)
	v_dot4c_i32_i8_e32 v23, v19, v3
	v_lshl_add_u32 v3, s4, 7, v40
	v_dot4c_i32_i8_e32 v21, v19, v1
	s_waitcnt vmcnt(19)
	v_dot4c_i32_i8_e32 v26, v4, v24
	s_waitcnt vmcnt(16)
	v_dot4c_i32_i8_e32 v29, v4, v28
	v_dot4c_i32_i8_e32 v27, v4, v25
	buffer_store_dword v5, off, s[0:3], 0 offset:272
	buffer_store_dword v6, off, s[0:3], 0 offset:276
	buffer_store_dword v7, off, s[0:3], 0 offset:280
	buffer_store_dword v8, off, s[0:3], 0 offset:284
	buffer_store_dword v9, off, s[0:3], 0 offset:304
	buffer_store_dword v10, off, s[0:3], 0 offset:308
	buffer_store_dword v11, off, s[0:3], 0 offset:312
	buffer_store_dword v12, off, s[0:3], 0 offset:316
	buffer_store_dword v15, off, s[0:3], 0 offset:336
	buffer_store_dword v16, off, s[0:3], 0 offset:340
	buffer_store_dword v17, off, s[0:3], 0 offset:344
	buffer_store_dword v18, off, s[0:3], 0 offset:348
	buffer_store_dword v20, off, s[0:3], 0 offset:368
	buffer_store_dword v21, off, s[0:3], 0 offset:372
	buffer_store_dword v22, off, s[0:3], 0 offset:376
	buffer_store_dword v23, off, s[0:3], 0 offset:380
	buffer_store_dword v26, off, s[0:3], 0 offset:288
	buffer_store_dword v27, off, s[0:3], 0 offset:292
	buffer_store_dword v29, off, s[0:3], 0 offset:296
	s_waitcnt vmcnt(33)
	v_dot4c_i32_i8_e32 v31, v4, v30
	s_waitcnt vmcnt(32)
	v_dot4c_i32_i8_e32 v32, v13, v24
	;; [unrolled: 2-line block ×13, first 2 shown]
	v_mul_lo_u32 v0, v3, s34
	buffer_load_dword v5, off, s[0:3], 0 offset:172
	buffer_load_dword v6, off, s[0:3], 0 offset:168
	v_mad_u64_u32 v[0:1], s[4:5], v2, s35, v[0:1]
	buffer_store_dword v31, off, s[0:3], 0 offset:300
	buffer_store_dword v32, off, s[0:3], 0 offset:320
	;; [unrolled: 1-line block ×13, first 2 shown]
	buffer_load_dword v1, v0, s[44:47], 0 offen
	buffer_load_dword v4, off, s[0:3], 0 offset:152
	buffer_load_dword v7, off, s[0:3], 0 offset:148
	v_cmp_gt_i32_e32 vcc, s8, v2
	v_cmp_gt_i32_e64 s[4:5], s11, v3
	s_and_b64 s[6:7], s[4:5], vcc
	v_add_u32_e32 v8, s10, v0
	v_add_u32_e32 v0, s34, v0
	v_or_b32_e32 v15, 1, v3
	v_add_u32_e32 v16, s10, v0
	s_waitcnt vmcnt(2)
	v_cndmask_b32_e64 v1, 0, v1, s[6:7]
	v_add_u16_e32 v9, v1, v47
	v_add_u16_sdwa v10, v1, v48 dst_sel:DWORD dst_unused:UNUSED_PAD src0_sel:BYTE_3 src1_sel:DWORD
	s_waitcnt vmcnt(1)
	v_add_u16_sdwa v4, v1, v4 dst_sel:DWORD dst_unused:UNUSED_PAD src0_sel:WORD_1 src1_sel:DWORD
	s_waitcnt vmcnt(0)
	v_add_u16_sdwa v1, v1, v7 dst_sel:DWORD dst_unused:UNUSED_PAD src0_sel:BYTE_1 src1_sel:DWORD
	v_max_i16_sdwa v9, sext(v9), v35 dst_sel:DWORD dst_unused:UNUSED_PAD src0_sel:BYTE_0 src1_sel:DWORD
	v_max_i16_sdwa v1, sext(v1), v35 dst_sel:DWORD dst_unused:UNUSED_PAD src0_sel:BYTE_0 src1_sel:DWORD
	;; [unrolled: 1-line block ×4, first 2 shown]
	buffer_store_dword v9, off, s[0:3], 0 offset:144
	buffer_store_dword v10, off, s[0:3], 0 offset:156
	buffer_store_dword v4, off, s[0:3], 0 offset:152
	buffer_store_dword v1, off, s[0:3], 0 offset:148
	buffer_load_dword v9, off, s[0:3], 0 offset:144
	s_nop 0
	buffer_load_dword v1, v8, s[44:47], 0 offen
	buffer_load_dword v4, off, s[0:3], 0 offset:160
	buffer_load_dword v7, off, s[0:3], 0 offset:164
	v_add_u32_e32 v8, 64, v2
	v_cmp_gt_i32_e64 s[6:7], s8, v8
	s_and_b64 s[4:5], s[4:5], s[6:7]
	buffer_load_dword v10, off, s[0:3], 0 offset:156
	s_waitcnt vmcnt(3)
	v_cndmask_b32_e64 v1, 0, v1, s[4:5]
	s_waitcnt vmcnt(2)
	v_add_u16_e32 v4, v1, v4
	v_add_u16_sdwa v5, v1, v5 dst_sel:DWORD dst_unused:UNUSED_PAD src0_sel:BYTE_3 src1_sel:DWORD
	v_add_u16_sdwa v6, v1, v6 dst_sel:DWORD dst_unused:UNUSED_PAD src0_sel:WORD_1 src1_sel:DWORD
	s_waitcnt vmcnt(1)
	v_add_u16_sdwa v1, v1, v7 dst_sel:DWORD dst_unused:UNUSED_PAD src0_sel:BYTE_1 src1_sel:DWORD
	v_max_i16_sdwa v4, sext(v4), v35 dst_sel:DWORD dst_unused:UNUSED_PAD src0_sel:BYTE_0 src1_sel:DWORD
	v_max_i16_sdwa v1, sext(v1), v35 dst_sel:DWORD dst_unused:UNUSED_PAD src0_sel:BYTE_0 src1_sel:DWORD
	;; [unrolled: 1-line block ×4, first 2 shown]
	buffer_store_dword v4, off, s[0:3], 0 offset:160
	buffer_store_dword v5, off, s[0:3], 0 offset:172
	;; [unrolled: 1-line block ×4, first 2 shown]
	buffer_load_dword v1, v0, s[44:47], 0 offen
	s_nop 0
	buffer_load_dword v4, off, s[0:3], 0 offset:176
	buffer_load_dword v5, off, s[0:3], 0 offset:188
	;; [unrolled: 1-line block ×8, first 2 shown]
	v_cmp_gt_i32_e64 s[4:5], s11, v15
	s_and_b64 s[8:9], s[4:5], vcc
	s_and_b64 s[4:5], s[4:5], s[6:7]
	v_add_u32_e32 v0, s34, v0
	v_add_u32_e32 v17, s10, v0
	s_waitcnt vmcnt(8)
	v_cndmask_b32_e64 v1, 0, v1, s[8:9]
	s_waitcnt vmcnt(7)
	v_add_u16_e32 v4, v1, v4
	s_waitcnt vmcnt(6)
	v_add_u16_sdwa v5, v1, v5 dst_sel:DWORD dst_unused:UNUSED_PAD src0_sel:BYTE_3 src1_sel:DWORD
	s_waitcnt vmcnt(5)
	v_add_u16_sdwa v6, v1, v6 dst_sel:DWORD dst_unused:UNUSED_PAD src0_sel:WORD_1 src1_sel:DWORD
	s_waitcnt vmcnt(4)
	v_add_u16_sdwa v1, v1, v7 dst_sel:DWORD dst_unused:UNUSED_PAD src0_sel:BYTE_1 src1_sel:DWORD
	v_max_i16_sdwa v4, sext(v4), v35 dst_sel:DWORD dst_unused:UNUSED_PAD src0_sel:BYTE_0 src1_sel:DWORD
	v_max_i16_sdwa v1, sext(v1), v35 dst_sel:DWORD dst_unused:UNUSED_PAD src0_sel:BYTE_0 src1_sel:DWORD
	;; [unrolled: 1-line block ×4, first 2 shown]
	buffer_store_dword v4, off, s[0:3], 0 offset:176
	buffer_store_dword v5, off, s[0:3], 0 offset:188
	;; [unrolled: 1-line block ×4, first 2 shown]
	buffer_load_dword v1, v16, s[44:47], 0 offen
	v_or_b32_e32 v16, 2, v3
	s_waitcnt vmcnt(0)
	v_cndmask_b32_e64 v1, 0, v1, s[4:5]
	v_add_u16_e32 v4, v1, v11
	v_add_u16_sdwa v5, v1, v14 dst_sel:DWORD dst_unused:UNUSED_PAD src0_sel:BYTE_3 src1_sel:DWORD
	v_add_u16_sdwa v6, v1, v13 dst_sel:DWORD dst_unused:UNUSED_PAD src0_sel:WORD_1 src1_sel:DWORD
	v_add_u16_sdwa v1, v1, v12 dst_sel:DWORD dst_unused:UNUSED_PAD src0_sel:BYTE_1 src1_sel:DWORD
	v_max_i16_sdwa v4, sext(v4), v35 dst_sel:DWORD dst_unused:UNUSED_PAD src0_sel:BYTE_0 src1_sel:DWORD
	v_max_i16_sdwa v1, sext(v1), v35 dst_sel:DWORD dst_unused:UNUSED_PAD src0_sel:BYTE_0 src1_sel:DWORD
	;; [unrolled: 1-line block ×4, first 2 shown]
	buffer_store_dword v4, off, s[0:3], 0 offset:192
	buffer_store_dword v5, off, s[0:3], 0 offset:204
	;; [unrolled: 1-line block ×4, first 2 shown]
	buffer_load_dword v1, v0, s[44:47], 0 offen
	s_nop 0
	buffer_load_dword v4, off, s[0:3], 0 offset:208
	buffer_load_dword v5, off, s[0:3], 0 offset:220
	;; [unrolled: 1-line block ×8, first 2 shown]
	v_cmp_gt_i32_e64 s[4:5], s11, v16
	s_and_b64 s[8:9], s[4:5], vcc
	s_and_b64 s[4:5], s[4:5], s[6:7]
	v_add_u32_e32 v0, s34, v0
	v_add_u32_e32 v18, s10, v0
	s_waitcnt vmcnt(8)
	v_cndmask_b32_e64 v1, 0, v1, s[8:9]
	s_waitcnt vmcnt(7)
	v_add_u16_e32 v4, v1, v4
	s_waitcnt vmcnt(6)
	v_add_u16_sdwa v5, v1, v5 dst_sel:DWORD dst_unused:UNUSED_PAD src0_sel:BYTE_3 src1_sel:DWORD
	s_waitcnt vmcnt(5)
	v_add_u16_sdwa v6, v1, v6 dst_sel:DWORD dst_unused:UNUSED_PAD src0_sel:WORD_1 src1_sel:DWORD
	s_waitcnt vmcnt(4)
	v_add_u16_sdwa v1, v1, v7 dst_sel:DWORD dst_unused:UNUSED_PAD src0_sel:BYTE_1 src1_sel:DWORD
	v_max_i16_sdwa v4, sext(v4), v35 dst_sel:DWORD dst_unused:UNUSED_PAD src0_sel:BYTE_0 src1_sel:DWORD
	v_max_i16_sdwa v1, sext(v1), v35 dst_sel:DWORD dst_unused:UNUSED_PAD src0_sel:BYTE_0 src1_sel:DWORD
	;; [unrolled: 1-line block ×4, first 2 shown]
	buffer_store_dword v4, off, s[0:3], 0 offset:208
	buffer_store_dword v5, off, s[0:3], 0 offset:220
	buffer_store_dword v6, off, s[0:3], 0 offset:216
	buffer_store_dword v1, off, s[0:3], 0 offset:212
	buffer_load_dword v1, v17, s[44:47], 0 offen
	v_or_b32_e32 v17, 3, v3
	s_waitcnt vmcnt(0)
	v_cndmask_b32_e64 v1, 0, v1, s[4:5]
	v_add_u16_e32 v4, v1, v11
	v_add_u16_sdwa v5, v1, v14 dst_sel:DWORD dst_unused:UNUSED_PAD src0_sel:BYTE_3 src1_sel:DWORD
	v_add_u16_sdwa v6, v1, v13 dst_sel:DWORD dst_unused:UNUSED_PAD src0_sel:WORD_1 src1_sel:DWORD
	v_add_u16_sdwa v1, v1, v12 dst_sel:DWORD dst_unused:UNUSED_PAD src0_sel:BYTE_1 src1_sel:DWORD
	v_max_i16_sdwa v4, sext(v4), v35 dst_sel:DWORD dst_unused:UNUSED_PAD src0_sel:BYTE_0 src1_sel:DWORD
	v_max_i16_sdwa v1, sext(v1), v35 dst_sel:DWORD dst_unused:UNUSED_PAD src0_sel:BYTE_0 src1_sel:DWORD
	;; [unrolled: 1-line block ×4, first 2 shown]
	buffer_store_dword v4, off, s[0:3], 0 offset:224
	buffer_store_dword v5, off, s[0:3], 0 offset:236
	;; [unrolled: 1-line block ×4, first 2 shown]
	buffer_load_dword v1, v0, s[44:47], 0 offen
	s_nop 0
	buffer_load_dword v4, off, s[0:3], 0 offset:240
	buffer_load_dword v5, off, s[0:3], 0 offset:252
	;; [unrolled: 1-line block ×8, first 2 shown]
	v_cmp_gt_i32_e64 s[4:5], s11, v17
	s_and_b64 s[8:9], s[4:5], vcc
	s_and_b64 s[4:5], s[4:5], s[6:7]
	s_waitcnt vmcnt(8)
	v_cndmask_b32_e64 v1, 0, v1, s[8:9]
	s_waitcnt vmcnt(7)
	v_add_u16_e32 v4, v1, v4
	s_waitcnt vmcnt(6)
	v_add_u16_sdwa v5, v1, v5 dst_sel:DWORD dst_unused:UNUSED_PAD src0_sel:BYTE_3 src1_sel:DWORD
	s_waitcnt vmcnt(5)
	v_add_u16_sdwa v6, v1, v6 dst_sel:DWORD dst_unused:UNUSED_PAD src0_sel:WORD_1 src1_sel:DWORD
	s_waitcnt vmcnt(4)
	v_add_u16_sdwa v1, v1, v7 dst_sel:DWORD dst_unused:UNUSED_PAD src0_sel:BYTE_1 src1_sel:DWORD
	v_max_i16_sdwa v4, sext(v4), v35 dst_sel:DWORD dst_unused:UNUSED_PAD src0_sel:BYTE_0 src1_sel:DWORD
	v_max_i16_sdwa v1, sext(v1), v35 dst_sel:DWORD dst_unused:UNUSED_PAD src0_sel:BYTE_0 src1_sel:DWORD
	;; [unrolled: 1-line block ×4, first 2 shown]
	buffer_store_dword v4, off, s[0:3], 0 offset:240
	buffer_store_dword v5, off, s[0:3], 0 offset:252
	;; [unrolled: 1-line block ×4, first 2 shown]
	buffer_load_dword v1, v18, s[44:47], 0 offen
	s_waitcnt vmcnt(0)
	v_mad_u64_u32 v[4:5], s[8:9], s34, 61, v[0:1]
	v_cndmask_b32_e64 v0, 0, v1, s[4:5]
	v_add_u16_e32 v1, v0, v11
	v_add_u16_sdwa v5, v0, v14 dst_sel:DWORD dst_unused:UNUSED_PAD src0_sel:BYTE_3 src1_sel:DWORD
	v_add_u16_sdwa v6, v0, v13 dst_sel:DWORD dst_unused:UNUSED_PAD src0_sel:WORD_1 src1_sel:DWORD
	v_add_u16_sdwa v0, v0, v12 dst_sel:DWORD dst_unused:UNUSED_PAD src0_sel:BYTE_1 src1_sel:DWORD
	v_max_i16_sdwa v1, sext(v1), v35 dst_sel:DWORD dst_unused:UNUSED_PAD src0_sel:BYTE_0 src1_sel:DWORD
	v_max_i16_sdwa v0, sext(v0), v35 dst_sel:DWORD dst_unused:UNUSED_PAD src0_sel:BYTE_0 src1_sel:DWORD
	;; [unrolled: 1-line block ×4, first 2 shown]
	buffer_store_dword v1, off, s[0:3], 0 offset:256
	buffer_store_dword v5, off, s[0:3], 0 offset:268
	;; [unrolled: 1-line block ×4, first 2 shown]
	buffer_load_dword v1, v4, s[44:47], 0 offen
	s_nop 0
	buffer_load_dword v5, off, s[0:3], 0 offset:272
	buffer_load_dword v6, off, s[0:3], 0 offset:284
	;; [unrolled: 1-line block ×4, first 2 shown]
	v_add_u32_e32 v0, 64, v3
	v_cmp_gt_i32_e64 s[4:5], s11, v0
	s_and_b64 s[8:9], s[4:5], vcc
	v_add_u32_e32 v12, s10, v4
	buffer_load_dword v13, off, s[0:3], 0 offset:288
	buffer_load_dword v14, off, s[0:3], 0 offset:292
	;; [unrolled: 1-line block ×4, first 2 shown]
	s_and_b64 s[4:5], s[4:5], s[6:7]
	v_add_u32_e32 v4, s34, v4
	s_waitcnt vmcnt(8)
	v_cndmask_b32_e64 v1, 0, v1, s[8:9]
	s_waitcnt vmcnt(7)
	v_add_u16_e32 v5, v1, v5
	s_waitcnt vmcnt(6)
	v_add_u16_sdwa v6, v1, v6 dst_sel:DWORD dst_unused:UNUSED_PAD src0_sel:BYTE_3 src1_sel:DWORD
	s_waitcnt vmcnt(5)
	v_add_u16_sdwa v7, v1, v7 dst_sel:DWORD dst_unused:UNUSED_PAD src0_sel:WORD_1 src1_sel:DWORD
	s_waitcnt vmcnt(4)
	v_add_u16_sdwa v1, v1, v11 dst_sel:DWORD dst_unused:UNUSED_PAD src0_sel:BYTE_1 src1_sel:DWORD
	v_max_i16_sdwa v5, sext(v5), v35 dst_sel:DWORD dst_unused:UNUSED_PAD src0_sel:BYTE_0 src1_sel:DWORD
	v_max_i16_sdwa v1, sext(v1), v35 dst_sel:DWORD dst_unused:UNUSED_PAD src0_sel:BYTE_0 src1_sel:DWORD
	;; [unrolled: 1-line block ×4, first 2 shown]
	buffer_store_dword v5, off, s[0:3], 0 offset:272
	buffer_store_dword v6, off, s[0:3], 0 offset:284
	;; [unrolled: 1-line block ×4, first 2 shown]
	buffer_load_dword v1, v12, s[44:47], 0 offen
	v_add_u32_e32 v12, 0x41, v3
	s_waitcnt vmcnt(0)
	v_cndmask_b32_e64 v1, 0, v1, s[4:5]
	v_add_u16_e32 v5, v1, v13
	v_add_u16_sdwa v6, v1, v19 dst_sel:DWORD dst_unused:UNUSED_PAD src0_sel:BYTE_3 src1_sel:DWORD
	v_add_u16_sdwa v7, v1, v18 dst_sel:DWORD dst_unused:UNUSED_PAD src0_sel:WORD_1 src1_sel:DWORD
	v_add_u16_sdwa v1, v1, v14 dst_sel:DWORD dst_unused:UNUSED_PAD src0_sel:BYTE_1 src1_sel:DWORD
	v_max_i16_sdwa v5, sext(v5), v35 dst_sel:DWORD dst_unused:UNUSED_PAD src0_sel:BYTE_0 src1_sel:DWORD
	v_max_i16_sdwa v1, sext(v1), v35 dst_sel:DWORD dst_unused:UNUSED_PAD src0_sel:BYTE_0 src1_sel:DWORD
	;; [unrolled: 1-line block ×4, first 2 shown]
	buffer_store_dword v5, off, s[0:3], 0 offset:288
	buffer_store_dword v6, off, s[0:3], 0 offset:300
	;; [unrolled: 1-line block ×4, first 2 shown]
	buffer_load_dword v1, v4, s[44:47], 0 offen
	s_nop 0
	buffer_load_dword v5, off, s[0:3], 0 offset:304
	buffer_load_dword v6, off, s[0:3], 0 offset:316
	;; [unrolled: 1-line block ×4, first 2 shown]
	v_cmp_gt_i32_e64 s[4:5], s11, v12
	s_and_b64 s[8:9], s[4:5], vcc
	v_add_u32_e32 v13, s10, v4
	buffer_load_dword v14, off, s[0:3], 0 offset:320
	buffer_load_dword v18, off, s[0:3], 0 offset:324
	;; [unrolled: 1-line block ×4, first 2 shown]
	s_and_b64 s[4:5], s[4:5], s[6:7]
	v_add_u32_e32 v4, s34, v4
	s_waitcnt vmcnt(8)
	v_cndmask_b32_e64 v1, 0, v1, s[8:9]
	s_waitcnt vmcnt(7)
	v_add_u16_e32 v5, v1, v5
	s_waitcnt vmcnt(6)
	v_add_u16_sdwa v6, v1, v6 dst_sel:DWORD dst_unused:UNUSED_PAD src0_sel:BYTE_3 src1_sel:DWORD
	s_waitcnt vmcnt(5)
	v_add_u16_sdwa v7, v1, v7 dst_sel:DWORD dst_unused:UNUSED_PAD src0_sel:WORD_1 src1_sel:DWORD
	s_waitcnt vmcnt(4)
	v_add_u16_sdwa v1, v1, v11 dst_sel:DWORD dst_unused:UNUSED_PAD src0_sel:BYTE_1 src1_sel:DWORD
	v_max_i16_sdwa v5, sext(v5), v35 dst_sel:DWORD dst_unused:UNUSED_PAD src0_sel:BYTE_0 src1_sel:DWORD
	v_max_i16_sdwa v1, sext(v1), v35 dst_sel:DWORD dst_unused:UNUSED_PAD src0_sel:BYTE_0 src1_sel:DWORD
	;; [unrolled: 1-line block ×4, first 2 shown]
	buffer_store_dword v5, off, s[0:3], 0 offset:304
	buffer_store_dword v6, off, s[0:3], 0 offset:316
	;; [unrolled: 1-line block ×4, first 2 shown]
	buffer_load_dword v1, v13, s[44:47], 0 offen
	v_add_u32_e32 v13, 0x42, v3
	s_waitcnt vmcnt(0)
	v_cndmask_b32_e64 v1, 0, v1, s[4:5]
	v_add_u16_e32 v5, v1, v14
	v_add_u16_sdwa v6, v1, v20 dst_sel:DWORD dst_unused:UNUSED_PAD src0_sel:BYTE_3 src1_sel:DWORD
	v_add_u16_sdwa v7, v1, v19 dst_sel:DWORD dst_unused:UNUSED_PAD src0_sel:WORD_1 src1_sel:DWORD
	v_add_u16_sdwa v1, v1, v18 dst_sel:DWORD dst_unused:UNUSED_PAD src0_sel:BYTE_1 src1_sel:DWORD
	v_max_i16_sdwa v5, sext(v5), v35 dst_sel:DWORD dst_unused:UNUSED_PAD src0_sel:BYTE_0 src1_sel:DWORD
	v_max_i16_sdwa v1, sext(v1), v35 dst_sel:DWORD dst_unused:UNUSED_PAD src0_sel:BYTE_0 src1_sel:DWORD
	;; [unrolled: 1-line block ×4, first 2 shown]
	buffer_store_dword v5, off, s[0:3], 0 offset:320
	buffer_store_dword v6, off, s[0:3], 0 offset:332
	;; [unrolled: 1-line block ×4, first 2 shown]
	buffer_load_dword v1, v4, s[44:47], 0 offen
	s_nop 0
	buffer_load_dword v5, off, s[0:3], 0 offset:336
	buffer_load_dword v6, off, s[0:3], 0 offset:348
	;; [unrolled: 1-line block ×4, first 2 shown]
	v_cmp_gt_i32_e64 s[4:5], s11, v13
	s_and_b64 s[8:9], s[4:5], vcc
	v_add_u32_e32 v14, s10, v4
	buffer_load_dword v18, off, s[0:3], 0 offset:352
	buffer_load_dword v19, off, s[0:3], 0 offset:356
	;; [unrolled: 1-line block ×4, first 2 shown]
	s_and_b64 s[4:5], s[4:5], s[6:7]
	v_add_u32_e32 v4, s34, v4
	s_waitcnt vmcnt(8)
	v_cndmask_b32_e64 v1, 0, v1, s[8:9]
	s_waitcnt vmcnt(7)
	v_add_u16_e32 v5, v1, v5
	s_waitcnt vmcnt(6)
	v_add_u16_sdwa v6, v1, v6 dst_sel:DWORD dst_unused:UNUSED_PAD src0_sel:BYTE_3 src1_sel:DWORD
	s_waitcnt vmcnt(5)
	v_add_u16_sdwa v7, v1, v7 dst_sel:DWORD dst_unused:UNUSED_PAD src0_sel:WORD_1 src1_sel:DWORD
	s_waitcnt vmcnt(4)
	v_add_u16_sdwa v1, v1, v11 dst_sel:DWORD dst_unused:UNUSED_PAD src0_sel:BYTE_1 src1_sel:DWORD
	v_max_i16_sdwa v5, sext(v5), v35 dst_sel:DWORD dst_unused:UNUSED_PAD src0_sel:BYTE_0 src1_sel:DWORD
	v_max_i16_sdwa v1, sext(v1), v35 dst_sel:DWORD dst_unused:UNUSED_PAD src0_sel:BYTE_0 src1_sel:DWORD
	;; [unrolled: 1-line block ×4, first 2 shown]
	buffer_store_dword v5, off, s[0:3], 0 offset:336
	buffer_store_dword v6, off, s[0:3], 0 offset:348
	;; [unrolled: 1-line block ×4, first 2 shown]
	buffer_load_dword v1, v14, s[44:47], 0 offen
	v_cmp_gt_i32_e64 s[8:9], s33, v3
	s_waitcnt vmcnt(0)
	v_cndmask_b32_e64 v1, 0, v1, s[4:5]
	v_add_u16_e32 v5, v1, v18
	v_add_u16_sdwa v6, v1, v21 dst_sel:DWORD dst_unused:UNUSED_PAD src0_sel:BYTE_3 src1_sel:DWORD
	v_add_u16_sdwa v7, v1, v20 dst_sel:DWORD dst_unused:UNUSED_PAD src0_sel:WORD_1 src1_sel:DWORD
	v_add_u16_sdwa v1, v1, v19 dst_sel:DWORD dst_unused:UNUSED_PAD src0_sel:BYTE_1 src1_sel:DWORD
	v_max_i16_sdwa v5, sext(v5), v35 dst_sel:DWORD dst_unused:UNUSED_PAD src0_sel:BYTE_0 src1_sel:DWORD
	v_max_i16_sdwa v1, sext(v1), v35 dst_sel:DWORD dst_unused:UNUSED_PAD src0_sel:BYTE_0 src1_sel:DWORD
	;; [unrolled: 1-line block ×4, first 2 shown]
	buffer_store_dword v5, off, s[0:3], 0 offset:352
	buffer_store_dword v6, off, s[0:3], 0 offset:364
	;; [unrolled: 1-line block ×4, first 2 shown]
	buffer_load_dword v1, v4, s[44:47], 0 offen
	s_nop 0
	buffer_load_dword v5, off, s[0:3], 0 offset:368
	buffer_load_dword v6, off, s[0:3], 0 offset:380
	;; [unrolled: 1-line block ×6, first 2 shown]
	v_add_u32_e32 v19, 0x43, v3
	v_cmp_gt_i32_e64 s[4:5], s11, v19
	s_and_b64 vcc, s[4:5], vcc
	v_add_u32_e32 v4, s10, v4
	buffer_load_dword v20, off, s[0:3], 0 offset:384
	buffer_load_dword v21, off, s[0:3], 0 offset:388
	buffer_load_dword v22, off, s[0:3], 0 offset:392
	buffer_load_dword v23, off, s[0:3], 0 offset:396
	s_mov_b32 s10, 0xc0c0500
	s_and_b64 s[4:5], s[4:5], s[6:7]
	s_lshl_b32 s11, s39, 6
	s_waitcnt vmcnt(10)
	v_cndmask_b32_e32 v1, 0, v1, vcc
	s_waitcnt vmcnt(9)
	v_add_u16_e32 v5, v1, v5
	s_waitcnt vmcnt(8)
	v_add_u16_sdwa v6, v1, v6 dst_sel:DWORD dst_unused:UNUSED_PAD src0_sel:BYTE_3 src1_sel:DWORD
	s_waitcnt vmcnt(7)
	v_add_u16_sdwa v7, v1, v7 dst_sel:DWORD dst_unused:UNUSED_PAD src0_sel:WORD_1 src1_sel:DWORD
	s_waitcnt vmcnt(6)
	v_add_u16_sdwa v1, v1, v11 dst_sel:DWORD dst_unused:UNUSED_PAD src0_sel:BYTE_1 src1_sel:DWORD
	v_max_i16_sdwa v5, sext(v5), v35 dst_sel:DWORD dst_unused:UNUSED_PAD src0_sel:BYTE_0 src1_sel:DWORD
	v_max_i16_sdwa v1, sext(v1), v35 dst_sel:DWORD dst_unused:UNUSED_PAD src0_sel:BYTE_0 src1_sel:DWORD
	;; [unrolled: 1-line block ×4, first 2 shown]
	buffer_store_dword v5, off, s[0:3], 0 offset:368
	buffer_store_dword v6, off, s[0:3], 0 offset:380
	;; [unrolled: 1-line block ×4, first 2 shown]
	buffer_load_dword v1, v4, s[44:47], 0 offen
	v_bfrev_b32_e32 v5, 1
	v_mul_lo_u32 v4, v3, s38
	v_cmp_gt_i32_e32 vcc, s14, v2
	v_mad_u64_u32 v[2:3], s[12:13], v2, s39, v[4:5]
	s_waitcnt vmcnt(10)
	v_lshlrev_b32_e32 v4, 8, v14
	s_waitcnt vmcnt(9)
	v_lshlrev_b32_e32 v6, 16, v18
	v_lshlrev_b32_e32 v7, 24, v10
	v_and_b32_e32 v6, 0xff0000, v6
	v_perm_b32 v4, v4, v9, s10
	s_and_b64 s[12:13], s[8:9], vcc
	v_or3_b32 v4, v4, v6, v7
	v_cndmask_b32_e64 v3, v5, 0, s[12:13]
	v_add_u32_e32 v3, v3, v2
	s_lshl_b32 s12, s38, 6
	s_waitcnt vmcnt(0)
	v_cndmask_b32_e64 v1, 0, v1, s[4:5]
	v_add_u16_e32 v6, v1, v20
	v_add_u16_sdwa v7, v1, v23 dst_sel:DWORD dst_unused:UNUSED_PAD src0_sel:BYTE_3 src1_sel:DWORD
	v_add_u16_sdwa v9, v1, v22 dst_sel:DWORD dst_unused:UNUSED_PAD src0_sel:WORD_1 src1_sel:DWORD
	v_add_u16_sdwa v1, v1, v21 dst_sel:DWORD dst_unused:UNUSED_PAD src0_sel:BYTE_1 src1_sel:DWORD
	v_max_i16_sdwa v6, sext(v6), v35 dst_sel:DWORD dst_unused:UNUSED_PAD src0_sel:BYTE_0 src1_sel:DWORD
	v_max_i16_sdwa v1, sext(v1), v35 dst_sel:DWORD dst_unused:UNUSED_PAD src0_sel:BYTE_0 src1_sel:DWORD
	;; [unrolled: 1-line block ×4, first 2 shown]
	buffer_store_dword v6, off, s[0:3], 0 offset:384
	buffer_store_dword v7, off, s[0:3], 0 offset:396
	;; [unrolled: 1-line block ×4, first 2 shown]
	buffer_store_dword v4, v3, s[24:27], 0 offen
	buffer_load_dword v1, off, s[0:3], 0 offset:164
	s_nop 0
	buffer_load_dword v3, off, s[0:3], 0 offset:168
	buffer_load_dword v4, off, s[0:3], 0 offset:172
	buffer_load_dword v6, off, s[0:3], 0 offset:160
	v_cmp_gt_i32_e64 s[4:5], s14, v8
	s_and_b64 s[6:7], s[8:9], s[4:5]
	v_add_u32_e32 v7, s11, v2
	v_cndmask_b32_e64 v8, v5, 0, s[6:7]
	v_add_u32_e32 v8, v8, v7
	v_cmp_gt_i32_e64 s[6:7], s33, v15
	s_and_b64 s[8:9], s[6:7], s[4:5]
	v_add_u32_e32 v7, s38, v7
	s_and_b64 s[6:7], s[6:7], vcc
	v_add_u32_e32 v2, s38, v2
	s_waitcnt vmcnt(3)
	v_lshlrev_b32_e32 v1, 8, v1
	s_waitcnt vmcnt(2)
	v_lshlrev_b32_e32 v3, 16, v3
	;; [unrolled: 2-line block ×3, first 2 shown]
	v_and_b32_e32 v3, 0xff0000, v3
	s_waitcnt vmcnt(0)
	v_perm_b32 v1, v1, v6, s10
	v_or3_b32 v1, v1, v3, v4
	buffer_store_dword v1, v8, s[24:27], 0 offen
	buffer_load_dword v1, off, s[0:3], 0 offset:196
	s_nop 0
	buffer_load_dword v3, off, s[0:3], 0 offset:200
	buffer_load_dword v4, off, s[0:3], 0 offset:204
	;; [unrolled: 1-line block ×3, first 2 shown]
	v_cndmask_b32_e64 v8, v5, 0, s[8:9]
	v_add_u32_e32 v8, v8, v7
	v_add_u32_e32 v7, s38, v7
	s_waitcnt vmcnt(3)
	v_lshlrev_b32_e32 v1, 8, v1
	s_waitcnt vmcnt(2)
	v_lshlrev_b32_e32 v3, 16, v3
	;; [unrolled: 2-line block ×3, first 2 shown]
	v_and_b32_e32 v3, 0xff0000, v3
	s_waitcnt vmcnt(0)
	v_perm_b32 v1, v1, v6, s10
	v_or3_b32 v1, v1, v3, v4
	buffer_store_dword v1, v8, s[24:27], 0 offen
	buffer_load_dword v1, off, s[0:3], 0 offset:180
	s_nop 0
	buffer_load_dword v3, off, s[0:3], 0 offset:184
	buffer_load_dword v4, off, s[0:3], 0 offset:188
	;; [unrolled: 1-line block ×3, first 2 shown]
	v_cndmask_b32_e64 v8, v5, 0, s[6:7]
	v_add_u32_e32 v8, v2, v8
	v_cmp_gt_i32_e64 s[6:7], s33, v16
	s_and_b64 s[8:9], s[6:7], vcc
	s_and_b64 s[6:7], s[6:7], s[4:5]
	s_waitcnt vmcnt(3)
	v_lshlrev_b32_e32 v1, 8, v1
	s_waitcnt vmcnt(2)
	v_lshlrev_b32_e32 v3, 16, v3
	;; [unrolled: 2-line block ×3, first 2 shown]
	v_and_b32_e32 v3, 0xff0000, v3
	s_waitcnt vmcnt(0)
	v_perm_b32 v1, v1, v6, s10
	v_or3_b32 v1, v1, v3, v4
	buffer_store_dword v1, v8, s[24:27], 0 offen
	buffer_load_dword v1, off, s[0:3], 0 offset:212
	s_nop 0
	buffer_load_dword v3, off, s[0:3], 0 offset:216
	buffer_load_dword v4, off, s[0:3], 0 offset:220
	buffer_load_dword v6, off, s[0:3], 0 offset:208
	v_cndmask_b32_e64 v8, v5, 0, s[8:9]
	v_add3_u32 v2, v8, s38, v2
	s_waitcnt vmcnt(3)
	v_lshlrev_b32_e32 v1, 8, v1
	s_waitcnt vmcnt(2)
	v_lshlrev_b32_e32 v3, 16, v3
	;; [unrolled: 2-line block ×3, first 2 shown]
	v_and_b32_e32 v3, 0xff0000, v3
	s_waitcnt vmcnt(0)
	v_perm_b32 v1, v1, v6, s10
	v_or3_b32 v1, v1, v3, v4
	buffer_store_dword v1, v2, s[24:27], 0 offen
	buffer_load_dword v1, off, s[0:3], 0 offset:228
	s_nop 0
	buffer_load_dword v2, off, s[0:3], 0 offset:232
	buffer_load_dword v3, off, s[0:3], 0 offset:236
	;; [unrolled: 1-line block ×3, first 2 shown]
	v_cndmask_b32_e64 v6, v5, 0, s[6:7]
	v_add_u32_e32 v6, v7, v6
	v_cmp_gt_i32_e64 s[6:7], s33, v17
	s_and_b64 s[8:9], s[6:7], s[4:5]
	v_add_u32_e32 v7, s38, v7
	s_and_b64 s[6:7], s[6:7], vcc
	s_waitcnt vmcnt(3)
	v_lshlrev_b32_e32 v1, 8, v1
	s_waitcnt vmcnt(2)
	v_lshlrev_b32_e32 v2, 16, v2
	;; [unrolled: 2-line block ×3, first 2 shown]
	v_and_b32_e32 v2, 0xff0000, v2
	s_waitcnt vmcnt(0)
	v_perm_b32 v1, v1, v4, s10
	v_or3_b32 v1, v1, v2, v3
	buffer_store_dword v1, v6, s[24:27], 0 offen
	buffer_load_dword v1, off, s[0:3], 0 offset:260
	s_nop 0
	buffer_load_dword v2, off, s[0:3], 0 offset:264
	buffer_load_dword v3, off, s[0:3], 0 offset:268
	;; [unrolled: 1-line block ×3, first 2 shown]
	v_cndmask_b32_e64 v6, v5, 0, s[8:9]
	v_add_u32_e32 v6, v7, v6
	v_subrev_u32_e32 v7, s11, v7
	s_waitcnt vmcnt(3)
	v_lshlrev_b32_e32 v1, 8, v1
	s_waitcnt vmcnt(2)
	v_lshlrev_b32_e32 v2, 16, v2
	;; [unrolled: 2-line block ×3, first 2 shown]
	v_and_b32_e32 v2, 0xff0000, v2
	s_waitcnt vmcnt(0)
	v_perm_b32 v1, v1, v4, s10
	v_or3_b32 v1, v1, v2, v3
	buffer_store_dword v1, v6, s[24:27], 0 offen
	buffer_load_dword v1, off, s[0:3], 0 offset:244
	s_nop 0
	buffer_load_dword v2, off, s[0:3], 0 offset:248
	buffer_load_dword v3, off, s[0:3], 0 offset:252
	;; [unrolled: 1-line block ×3, first 2 shown]
	v_cndmask_b32_e64 v6, v5, 0, s[6:7]
	v_add_u32_e32 v6, v7, v6
	v_cmp_gt_i32_e64 s[6:7], s33, v19
	s_and_b64 s[8:9], s[6:7], vcc
	s_and_b64 s[6:7], s[6:7], s[4:5]
	s_waitcnt vmcnt(3)
	v_lshlrev_b32_e32 v1, 8, v1
	s_waitcnt vmcnt(2)
	v_lshlrev_b32_e32 v2, 16, v2
	;; [unrolled: 2-line block ×3, first 2 shown]
	v_and_b32_e32 v2, 0xff0000, v2
	s_waitcnt vmcnt(0)
	v_perm_b32 v1, v1, v4, s10
	v_or3_b32 v1, v1, v2, v3
	buffer_store_dword v1, v6, s[24:27], 0 offen
	buffer_load_dword v1, off, s[0:3], 0 offset:372
	s_nop 0
	buffer_load_dword v2, off, s[0:3], 0 offset:376
	buffer_load_dword v3, off, s[0:3], 0 offset:380
	;; [unrolled: 1-line block ×3, first 2 shown]
	v_cndmask_b32_e64 v6, v5, 0, s[8:9]
	v_add3_u32 v6, v6, s12, v7
	s_add_i32 s8, s39, s38
	v_lshl_add_u32 v7, s8, 6, v7
	s_waitcnt vmcnt(3)
	v_lshlrev_b32_e32 v1, 8, v1
	s_waitcnt vmcnt(2)
	v_lshlrev_b32_e32 v2, 16, v2
	;; [unrolled: 2-line block ×3, first 2 shown]
	v_and_b32_e32 v2, 0xff0000, v2
	s_waitcnt vmcnt(0)
	v_perm_b32 v1, v1, v4, s10
	v_or3_b32 v1, v1, v2, v3
	buffer_store_dword v1, v6, s[24:27], 0 offen
	buffer_load_dword v1, off, s[0:3], 0 offset:388
	s_nop 0
	buffer_load_dword v2, off, s[0:3], 0 offset:392
	buffer_load_dword v3, off, s[0:3], 0 offset:396
	;; [unrolled: 1-line block ×3, first 2 shown]
	v_cndmask_b32_e64 v6, v5, 0, s[6:7]
	v_add_u32_e32 v6, v7, v6
	v_cmp_ge_i32_e64 s[6:7], s33, v19
	s_and_b64 s[6:7], s[6:7], s[4:5]
	v_subrev_u32_e32 v7, s38, v7
	s_waitcnt vmcnt(3)
	v_lshlrev_b32_e32 v1, 8, v1
	s_waitcnt vmcnt(2)
	v_lshlrev_b32_e32 v2, 16, v2
	;; [unrolled: 2-line block ×3, first 2 shown]
	v_and_b32_e32 v2, 0xff0000, v2
	s_waitcnt vmcnt(0)
	v_perm_b32 v1, v1, v4, s10
	v_or3_b32 v1, v1, v2, v3
	buffer_store_dword v1, v6, s[24:27], 0 offen
	buffer_load_dword v1, off, s[0:3], 0 offset:356
	s_nop 0
	buffer_load_dword v2, off, s[0:3], 0 offset:360
	buffer_load_dword v3, off, s[0:3], 0 offset:364
	;; [unrolled: 1-line block ×3, first 2 shown]
	v_cndmask_b32_e64 v6, v5, 0, s[6:7]
	v_add_u32_e32 v6, v7, v6
	v_cmp_gt_i32_e64 s[6:7], s33, v13
	s_and_b64 s[6:7], s[6:7], vcc
	v_subrev_u32_e32 v7, s11, v7
	s_waitcnt vmcnt(3)
	v_lshlrev_b32_e32 v1, 8, v1
	s_waitcnt vmcnt(2)
	v_lshlrev_b32_e32 v2, 16, v2
	;; [unrolled: 2-line block ×3, first 2 shown]
	v_and_b32_e32 v2, 0xff0000, v2
	s_waitcnt vmcnt(0)
	v_perm_b32 v1, v1, v4, s10
	v_or3_b32 v1, v1, v2, v3
	buffer_store_dword v1, v6, s[24:27], 0 offen
	buffer_load_dword v1, off, s[0:3], 0 offset:340
	s_nop 0
	buffer_load_dword v2, off, s[0:3], 0 offset:344
	buffer_load_dword v3, off, s[0:3], 0 offset:348
	;; [unrolled: 1-line block ×3, first 2 shown]
	v_cndmask_b32_e64 v6, v5, 0, s[6:7]
	v_add_u32_e32 v6, v7, v6
	v_cmp_ge_i32_e64 s[6:7], s33, v13
	s_and_b64 s[6:7], s[6:7], vcc
	v_subrev_u32_e32 v7, s38, v7
	s_waitcnt vmcnt(3)
	v_lshlrev_b32_e32 v1, 8, v1
	s_waitcnt vmcnt(2)
	v_lshlrev_b32_e32 v2, 16, v2
	;; [unrolled: 2-line block ×3, first 2 shown]
	v_and_b32_e32 v2, 0xff0000, v2
	s_waitcnt vmcnt(0)
	v_perm_b32 v1, v1, v4, s10
	v_or3_b32 v1, v1, v2, v3
	buffer_store_dword v1, v6, s[24:27], 0 offen
	buffer_load_dword v1, off, s[0:3], 0 offset:308
	s_nop 0
	buffer_load_dword v2, off, s[0:3], 0 offset:312
	buffer_load_dword v3, off, s[0:3], 0 offset:316
	;; [unrolled: 1-line block ×3, first 2 shown]
	v_cndmask_b32_e64 v6, v5, 0, s[6:7]
	v_add_u32_e32 v6, v7, v6
	v_cmp_gt_i32_e64 s[6:7], s33, v12
	s_and_b64 s[6:7], s[6:7], s[4:5]
	v_add_u32_e32 v7, s11, v7
	s_waitcnt vmcnt(3)
	v_lshlrev_b32_e32 v1, 8, v1
	s_waitcnt vmcnt(2)
	v_lshlrev_b32_e32 v2, 16, v2
	;; [unrolled: 2-line block ×3, first 2 shown]
	v_and_b32_e32 v2, 0xff0000, v2
	s_waitcnt vmcnt(0)
	v_perm_b32 v1, v1, v4, s10
	v_or3_b32 v1, v1, v2, v3
	buffer_store_dword v1, v6, s[24:27], 0 offen
	buffer_load_dword v1, off, s[0:3], 0 offset:324
	s_nop 0
	buffer_load_dword v2, off, s[0:3], 0 offset:328
	buffer_load_dword v3, off, s[0:3], 0 offset:332
	;; [unrolled: 1-line block ×3, first 2 shown]
	v_cndmask_b32_e64 v6, v5, 0, s[6:7]
	v_add_u32_e32 v6, v7, v6
	v_cmp_ge_i32_e64 s[6:7], s33, v12
	s_and_b64 s[4:5], s[6:7], s[4:5]
	v_subrev_u32_e32 v7, s38, v7
	s_waitcnt vmcnt(3)
	v_lshlrev_b32_e32 v1, 8, v1
	s_waitcnt vmcnt(2)
	v_lshlrev_b32_e32 v2, 16, v2
	;; [unrolled: 2-line block ×3, first 2 shown]
	v_and_b32_e32 v2, 0xff0000, v2
	s_waitcnt vmcnt(0)
	v_perm_b32 v1, v1, v4, s10
	v_or3_b32 v1, v1, v2, v3
	buffer_store_dword v1, v6, s[24:27], 0 offen
	buffer_load_dword v1, off, s[0:3], 0 offset:292
	s_nop 0
	buffer_load_dword v2, off, s[0:3], 0 offset:296
	buffer_load_dword v3, off, s[0:3], 0 offset:300
	;; [unrolled: 1-line block ×3, first 2 shown]
	v_cndmask_b32_e64 v6, v5, 0, s[4:5]
	v_add_u32_e32 v6, v7, v6
	v_cmp_gt_i32_e64 s[4:5], s33, v0
	s_and_b64 s[4:5], s[4:5], vcc
	v_cndmask_b32_e64 v0, v5, 0, s[4:5]
	v_subrev_u32_e32 v0, s11, v0
	v_add_u32_e32 v0, v0, v7
	s_waitcnt vmcnt(3)
	v_lshlrev_b32_e32 v1, 8, v1
	s_waitcnt vmcnt(2)
	v_lshlrev_b32_e32 v2, 16, v2
	;; [unrolled: 2-line block ×3, first 2 shown]
	v_and_b32_e32 v2, 0xff0000, v2
	s_waitcnt vmcnt(0)
	v_perm_b32 v1, v1, v4, s10
	v_or3_b32 v1, v1, v2, v3
	buffer_store_dword v1, v6, s[24:27], 0 offen
	buffer_load_dword v1, off, s[0:3], 0 offset:276
	s_nop 0
	buffer_load_dword v2, off, s[0:3], 0 offset:280
	buffer_load_dword v3, off, s[0:3], 0 offset:284
	;; [unrolled: 1-line block ×3, first 2 shown]
	s_waitcnt vmcnt(3)
	v_lshlrev_b32_e32 v1, 8, v1
	s_waitcnt vmcnt(2)
	v_lshlrev_b32_e32 v2, 16, v2
	;; [unrolled: 2-line block ×3, first 2 shown]
	v_and_b32_e32 v2, 0xff0000, v2
	s_waitcnt vmcnt(0)
	v_perm_b32 v1, v1, v4, s10
	v_or3_b32 v1, v1, v2, v3
	buffer_store_dword v1, v0, s[24:27], 0 offen
	s_endpgm
	.section	.rodata,"a",@progbits
	.p2align	6, 0x0
	.amdhsa_kernel _ZN2ck16tensor_operation6device12_GLOBAL__N_137kernel_grouped_conv_fwd_dl_multiple_dINS_32GridwiseGemmDlMultipleD_km_kn_mnILi256EaiNS_5TupleIJaEEEaNS0_12element_wise11PassThroughES8_NS7_7AddReluELNS_25InMemoryDataOperationEnumE0ENS_16TensorDescriptorINS5_IJNS_5EmbedINS5_IJiiiiiEEESD_Lb0EEENS_11PassThroughIiEENS_3PadIiiiLb0EEESI_SI_SG_SG_NSC_INS5_IJiiEEESJ_Lb0EEESK_SK_SG_NS_23Merge_v2_magic_divisionINS5_IJiiiiEEEEESN_NS_8RightPadIiiLb0EEESP_NS_7UnMergeISJ_Lb0EEESG_EEENS5_IJNS_8SequenceIJLi0EEEENST_IJLi1EEEENST_IJLi2EEEENST_IJLi3EEEENST_IJLi4EEEENST_IJLi5EEEENST_IJLi6EEEENST_IJLi7EEEENST_IJLi8EEEENST_IJLi9EEEENST_IJLi10EEEENST_IJLi11ELi13ELi15ELi17EEEENST_IJLi12ELi14ELi16ELi18EEEENST_IJLi19EEEENST_IJLi20EEEENST_IJLi22EEEENST_IJLi21EEEEEEENS5_IJNST_IJLi1ELi2ELi3ELi4ELi5EEEES10_S11_S12_S13_S14_NST_IJLi11EEEENST_IJLi12ELi13EEEENST_IJLi14ELi15EEEENST_IJLi16ELi17EEEENST_IJLi18EEEES17_S18_S1A_S19_NST_IJLi23ELi24EEEENST_IJLi25EEEEEEENST_IJLi23ELi25ELi24EEEElEENSB_INS5_IJSR_SP_SP_SR_SG_EEENS5_IJSU_SV_SW_SY_SX_EEENS5_IJNST_IJLi1ELi2EEEESX_SY_NST_IJLi5ELi6EEEES11_EEENST_IJLi5ELi7ELi6EEEElEENSB_INS5_IJSK_SP_SP_EEENS5_IJSU_SV_SW_EEENS5_IJS1P_SX_SY_EEENST_IJLi3ELi4EEEElEELi128ELi128ELi16ELi4ELi4ELi4ELi1ENST_IJLi8ELi2EEEES1Z_NST_IJLi8ELi1ELi1ELi4EEEENST_IJLi2ELi1ELi128ELi1EEEENST_IJLi1ELi2ELi0ELi3EEEES22_NST_IJLi4ELi1ELi1ELi4EEEES22_NST_IJLi1ELi1ELi1ELi4EEEES20_S21_S22_S22_S23_S22_S24_NST_IJLi0ELi1ELi2ELi3ELi4ELi5EEEELi5ELi4EEEaNS5_IJPKaEEEaS8_S8_S9_NSB_INS5_IJSE_SG_SI_SI_SI_SG_SG_SK_SK_SK_SG_SN_SN_SP_SP_SR_SG_SG_NSQ_INS5_IJiNS_17integral_constantIiLi128EEEEEELb0EEENSF_INS2A_IiLi4EEEEEEEENS5_IJSU_SV_SW_SX_SY_SZ_S10_S11_S12_S13_S14_S15_S16_S17_S18_S19_S1A_NST_IJLi23EEEES1J_NST_IJLi24EEEEEEENS5_IJS1C_S10_S11_S12_S13_S14_S1D_S1E_S1F_S1G_S1H_S17_S18_S1A_S19_S1I_S1J_NST_IJLi26EEEENST_IJLi27ELi28EEEENST_IJLi29EEEEEEENST_IJLi26ELi27ELi28ELi29EEEElEENSB_INS5_IJSR_SP_SP_SR_SG_SG_S2D_S2F_EEENS5_IJSU_SV_SW_SY_SX_SZ_S11_S10_EEENS5_IJS1P_SX_SY_S1Q_S11_S12_NST_IJLi9ELi10EEEES1D_EEENST_IJLi8ELi9ELi10ELi11EEEElEENS5_IJNSB_INS5_IJSK_SP_SP_NSQ_INS5_IJiNS2A_IiLi2EEENS2A_IiLi64EEEEEELb0EEES2Z_EEENS5_IJSU_SV_SW_SX_SY_EEENS5_IJS1P_SX_SY_NST_IJLi5ELi6ELi7EEEENST_IJLi8ELi9ELi10EEEEEEENST_IJLi5ELi6ELi7ELi8ELi9ELi10EEEElEEEEES36_NS_31BlockToCTileMap_M00_N00_M01_N01ILi128ELi128ES1Y_Lb0EEENS1_30ComputePtrOffsetOfStridedBatchILi1ELi1ELi1EvEELb1ELb1EEEvPKT0_S3E_T1_PT2_T3_T4_T5_iT6_T7_T8_T9_T10_T11_
		.amdhsa_group_segment_fixed_size 32768
		.amdhsa_private_segment_fixed_size 480
		.amdhsa_kernarg_size 1024
		.amdhsa_user_sgpr_count 8
		.amdhsa_user_sgpr_private_segment_buffer 1
		.amdhsa_user_sgpr_dispatch_ptr 0
		.amdhsa_user_sgpr_queue_ptr 0
		.amdhsa_user_sgpr_kernarg_segment_ptr 1
		.amdhsa_user_sgpr_dispatch_id 0
		.amdhsa_user_sgpr_flat_scratch_init 1
		.amdhsa_user_sgpr_kernarg_preload_length 0
		.amdhsa_user_sgpr_kernarg_preload_offset 0
		.amdhsa_user_sgpr_private_segment_size 0
		.amdhsa_uses_dynamic_stack 0
		.amdhsa_system_sgpr_private_segment_wavefront_offset 1
		.amdhsa_system_sgpr_workgroup_id_x 1
		.amdhsa_system_sgpr_workgroup_id_y 0
		.amdhsa_system_sgpr_workgroup_id_z 0
		.amdhsa_system_sgpr_workgroup_info 0
		.amdhsa_system_vgpr_workitem_id 0
		.amdhsa_next_free_vgpr 91
		.amdhsa_next_free_sgpr 100
		.amdhsa_accum_offset 92
		.amdhsa_reserve_vcc 1
		.amdhsa_reserve_flat_scratch 1
		.amdhsa_float_round_mode_32 0
		.amdhsa_float_round_mode_16_64 0
		.amdhsa_float_denorm_mode_32 3
		.amdhsa_float_denorm_mode_16_64 3
		.amdhsa_dx10_clamp 1
		.amdhsa_ieee_mode 1
		.amdhsa_fp16_overflow 0
		.amdhsa_tg_split 0
		.amdhsa_exception_fp_ieee_invalid_op 0
		.amdhsa_exception_fp_denorm_src 0
		.amdhsa_exception_fp_ieee_div_zero 0
		.amdhsa_exception_fp_ieee_overflow 0
		.amdhsa_exception_fp_ieee_underflow 0
		.amdhsa_exception_fp_ieee_inexact 0
		.amdhsa_exception_int_div_zero 0
	.end_amdhsa_kernel
	.section	.text._ZN2ck16tensor_operation6device12_GLOBAL__N_137kernel_grouped_conv_fwd_dl_multiple_dINS_32GridwiseGemmDlMultipleD_km_kn_mnILi256EaiNS_5TupleIJaEEEaNS0_12element_wise11PassThroughES8_NS7_7AddReluELNS_25InMemoryDataOperationEnumE0ENS_16TensorDescriptorINS5_IJNS_5EmbedINS5_IJiiiiiEEESD_Lb0EEENS_11PassThroughIiEENS_3PadIiiiLb0EEESI_SI_SG_SG_NSC_INS5_IJiiEEESJ_Lb0EEESK_SK_SG_NS_23Merge_v2_magic_divisionINS5_IJiiiiEEEEESN_NS_8RightPadIiiLb0EEESP_NS_7UnMergeISJ_Lb0EEESG_EEENS5_IJNS_8SequenceIJLi0EEEENST_IJLi1EEEENST_IJLi2EEEENST_IJLi3EEEENST_IJLi4EEEENST_IJLi5EEEENST_IJLi6EEEENST_IJLi7EEEENST_IJLi8EEEENST_IJLi9EEEENST_IJLi10EEEENST_IJLi11ELi13ELi15ELi17EEEENST_IJLi12ELi14ELi16ELi18EEEENST_IJLi19EEEENST_IJLi20EEEENST_IJLi22EEEENST_IJLi21EEEEEEENS5_IJNST_IJLi1ELi2ELi3ELi4ELi5EEEES10_S11_S12_S13_S14_NST_IJLi11EEEENST_IJLi12ELi13EEEENST_IJLi14ELi15EEEENST_IJLi16ELi17EEEENST_IJLi18EEEES17_S18_S1A_S19_NST_IJLi23ELi24EEEENST_IJLi25EEEEEEENST_IJLi23ELi25ELi24EEEElEENSB_INS5_IJSR_SP_SP_SR_SG_EEENS5_IJSU_SV_SW_SY_SX_EEENS5_IJNST_IJLi1ELi2EEEESX_SY_NST_IJLi5ELi6EEEES11_EEENST_IJLi5ELi7ELi6EEEElEENSB_INS5_IJSK_SP_SP_EEENS5_IJSU_SV_SW_EEENS5_IJS1P_SX_SY_EEENST_IJLi3ELi4EEEElEELi128ELi128ELi16ELi4ELi4ELi4ELi1ENST_IJLi8ELi2EEEES1Z_NST_IJLi8ELi1ELi1ELi4EEEENST_IJLi2ELi1ELi128ELi1EEEENST_IJLi1ELi2ELi0ELi3EEEES22_NST_IJLi4ELi1ELi1ELi4EEEES22_NST_IJLi1ELi1ELi1ELi4EEEES20_S21_S22_S22_S23_S22_S24_NST_IJLi0ELi1ELi2ELi3ELi4ELi5EEEELi5ELi4EEEaNS5_IJPKaEEEaS8_S8_S9_NSB_INS5_IJSE_SG_SI_SI_SI_SG_SG_SK_SK_SK_SG_SN_SN_SP_SP_SR_SG_SG_NSQ_INS5_IJiNS_17integral_constantIiLi128EEEEEELb0EEENSF_INS2A_IiLi4EEEEEEEENS5_IJSU_SV_SW_SX_SY_SZ_S10_S11_S12_S13_S14_S15_S16_S17_S18_S19_S1A_NST_IJLi23EEEES1J_NST_IJLi24EEEEEEENS5_IJS1C_S10_S11_S12_S13_S14_S1D_S1E_S1F_S1G_S1H_S17_S18_S1A_S19_S1I_S1J_NST_IJLi26EEEENST_IJLi27ELi28EEEENST_IJLi29EEEEEEENST_IJLi26ELi27ELi28ELi29EEEElEENSB_INS5_IJSR_SP_SP_SR_SG_SG_S2D_S2F_EEENS5_IJSU_SV_SW_SY_SX_SZ_S11_S10_EEENS5_IJS1P_SX_SY_S1Q_S11_S12_NST_IJLi9ELi10EEEES1D_EEENST_IJLi8ELi9ELi10ELi11EEEElEENS5_IJNSB_INS5_IJSK_SP_SP_NSQ_INS5_IJiNS2A_IiLi2EEENS2A_IiLi64EEEEEELb0EEES2Z_EEENS5_IJSU_SV_SW_SX_SY_EEENS5_IJS1P_SX_SY_NST_IJLi5ELi6ELi7EEEENST_IJLi8ELi9ELi10EEEEEEENST_IJLi5ELi6ELi7ELi8ELi9ELi10EEEElEEEEES36_NS_31BlockToCTileMap_M00_N00_M01_N01ILi128ELi128ES1Y_Lb0EEENS1_30ComputePtrOffsetOfStridedBatchILi1ELi1ELi1EvEELb1ELb1EEEvPKT0_S3E_T1_PT2_T3_T4_T5_iT6_T7_T8_T9_T10_T11_,"axG",@progbits,_ZN2ck16tensor_operation6device12_GLOBAL__N_137kernel_grouped_conv_fwd_dl_multiple_dINS_32GridwiseGemmDlMultipleD_km_kn_mnILi256EaiNS_5TupleIJaEEEaNS0_12element_wise11PassThroughES8_NS7_7AddReluELNS_25InMemoryDataOperationEnumE0ENS_16TensorDescriptorINS5_IJNS_5EmbedINS5_IJiiiiiEEESD_Lb0EEENS_11PassThroughIiEENS_3PadIiiiLb0EEESI_SI_SG_SG_NSC_INS5_IJiiEEESJ_Lb0EEESK_SK_SG_NS_23Merge_v2_magic_divisionINS5_IJiiiiEEEEESN_NS_8RightPadIiiLb0EEESP_NS_7UnMergeISJ_Lb0EEESG_EEENS5_IJNS_8SequenceIJLi0EEEENST_IJLi1EEEENST_IJLi2EEEENST_IJLi3EEEENST_IJLi4EEEENST_IJLi5EEEENST_IJLi6EEEENST_IJLi7EEEENST_IJLi8EEEENST_IJLi9EEEENST_IJLi10EEEENST_IJLi11ELi13ELi15ELi17EEEENST_IJLi12ELi14ELi16ELi18EEEENST_IJLi19EEEENST_IJLi20EEEENST_IJLi22EEEENST_IJLi21EEEEEEENS5_IJNST_IJLi1ELi2ELi3ELi4ELi5EEEES10_S11_S12_S13_S14_NST_IJLi11EEEENST_IJLi12ELi13EEEENST_IJLi14ELi15EEEENST_IJLi16ELi17EEEENST_IJLi18EEEES17_S18_S1A_S19_NST_IJLi23ELi24EEEENST_IJLi25EEEEEEENST_IJLi23ELi25ELi24EEEElEENSB_INS5_IJSR_SP_SP_SR_SG_EEENS5_IJSU_SV_SW_SY_SX_EEENS5_IJNST_IJLi1ELi2EEEESX_SY_NST_IJLi5ELi6EEEES11_EEENST_IJLi5ELi7ELi6EEEElEENSB_INS5_IJSK_SP_SP_EEENS5_IJSU_SV_SW_EEENS5_IJS1P_SX_SY_EEENST_IJLi3ELi4EEEElEELi128ELi128ELi16ELi4ELi4ELi4ELi1ENST_IJLi8ELi2EEEES1Z_NST_IJLi8ELi1ELi1ELi4EEEENST_IJLi2ELi1ELi128ELi1EEEENST_IJLi1ELi2ELi0ELi3EEEES22_NST_IJLi4ELi1ELi1ELi4EEEES22_NST_IJLi1ELi1ELi1ELi4EEEES20_S21_S22_S22_S23_S22_S24_NST_IJLi0ELi1ELi2ELi3ELi4ELi5EEEELi5ELi4EEEaNS5_IJPKaEEEaS8_S8_S9_NSB_INS5_IJSE_SG_SI_SI_SI_SG_SG_SK_SK_SK_SG_SN_SN_SP_SP_SR_SG_SG_NSQ_INS5_IJiNS_17integral_constantIiLi128EEEEEELb0EEENSF_INS2A_IiLi4EEEEEEEENS5_IJSU_SV_SW_SX_SY_SZ_S10_S11_S12_S13_S14_S15_S16_S17_S18_S19_S1A_NST_IJLi23EEEES1J_NST_IJLi24EEEEEEENS5_IJS1C_S10_S11_S12_S13_S14_S1D_S1E_S1F_S1G_S1H_S17_S18_S1A_S19_S1I_S1J_NST_IJLi26EEEENST_IJLi27ELi28EEEENST_IJLi29EEEEEEENST_IJLi26ELi27ELi28ELi29EEEElEENSB_INS5_IJSR_SP_SP_SR_SG_SG_S2D_S2F_EEENS5_IJSU_SV_SW_SY_SX_SZ_S11_S10_EEENS5_IJS1P_SX_SY_S1Q_S11_S12_NST_IJLi9ELi10EEEES1D_EEENST_IJLi8ELi9ELi10ELi11EEEElEENS5_IJNSB_INS5_IJSK_SP_SP_NSQ_INS5_IJiNS2A_IiLi2EEENS2A_IiLi64EEEEEELb0EEES2Z_EEENS5_IJSU_SV_SW_SX_SY_EEENS5_IJS1P_SX_SY_NST_IJLi5ELi6ELi7EEEENST_IJLi8ELi9ELi10EEEEEEENST_IJLi5ELi6ELi7ELi8ELi9ELi10EEEElEEEEES36_NS_31BlockToCTileMap_M00_N00_M01_N01ILi128ELi128ES1Y_Lb0EEENS1_30ComputePtrOffsetOfStridedBatchILi1ELi1ELi1EvEELb1ELb1EEEvPKT0_S3E_T1_PT2_T3_T4_T5_iT6_T7_T8_T9_T10_T11_,comdat
.Lfunc_end10:
	.size	_ZN2ck16tensor_operation6device12_GLOBAL__N_137kernel_grouped_conv_fwd_dl_multiple_dINS_32GridwiseGemmDlMultipleD_km_kn_mnILi256EaiNS_5TupleIJaEEEaNS0_12element_wise11PassThroughES8_NS7_7AddReluELNS_25InMemoryDataOperationEnumE0ENS_16TensorDescriptorINS5_IJNS_5EmbedINS5_IJiiiiiEEESD_Lb0EEENS_11PassThroughIiEENS_3PadIiiiLb0EEESI_SI_SG_SG_NSC_INS5_IJiiEEESJ_Lb0EEESK_SK_SG_NS_23Merge_v2_magic_divisionINS5_IJiiiiEEEEESN_NS_8RightPadIiiLb0EEESP_NS_7UnMergeISJ_Lb0EEESG_EEENS5_IJNS_8SequenceIJLi0EEEENST_IJLi1EEEENST_IJLi2EEEENST_IJLi3EEEENST_IJLi4EEEENST_IJLi5EEEENST_IJLi6EEEENST_IJLi7EEEENST_IJLi8EEEENST_IJLi9EEEENST_IJLi10EEEENST_IJLi11ELi13ELi15ELi17EEEENST_IJLi12ELi14ELi16ELi18EEEENST_IJLi19EEEENST_IJLi20EEEENST_IJLi22EEEENST_IJLi21EEEEEEENS5_IJNST_IJLi1ELi2ELi3ELi4ELi5EEEES10_S11_S12_S13_S14_NST_IJLi11EEEENST_IJLi12ELi13EEEENST_IJLi14ELi15EEEENST_IJLi16ELi17EEEENST_IJLi18EEEES17_S18_S1A_S19_NST_IJLi23ELi24EEEENST_IJLi25EEEEEEENST_IJLi23ELi25ELi24EEEElEENSB_INS5_IJSR_SP_SP_SR_SG_EEENS5_IJSU_SV_SW_SY_SX_EEENS5_IJNST_IJLi1ELi2EEEESX_SY_NST_IJLi5ELi6EEEES11_EEENST_IJLi5ELi7ELi6EEEElEENSB_INS5_IJSK_SP_SP_EEENS5_IJSU_SV_SW_EEENS5_IJS1P_SX_SY_EEENST_IJLi3ELi4EEEElEELi128ELi128ELi16ELi4ELi4ELi4ELi1ENST_IJLi8ELi2EEEES1Z_NST_IJLi8ELi1ELi1ELi4EEEENST_IJLi2ELi1ELi128ELi1EEEENST_IJLi1ELi2ELi0ELi3EEEES22_NST_IJLi4ELi1ELi1ELi4EEEES22_NST_IJLi1ELi1ELi1ELi4EEEES20_S21_S22_S22_S23_S22_S24_NST_IJLi0ELi1ELi2ELi3ELi4ELi5EEEELi5ELi4EEEaNS5_IJPKaEEEaS8_S8_S9_NSB_INS5_IJSE_SG_SI_SI_SI_SG_SG_SK_SK_SK_SG_SN_SN_SP_SP_SR_SG_SG_NSQ_INS5_IJiNS_17integral_constantIiLi128EEEEEELb0EEENSF_INS2A_IiLi4EEEEEEEENS5_IJSU_SV_SW_SX_SY_SZ_S10_S11_S12_S13_S14_S15_S16_S17_S18_S19_S1A_NST_IJLi23EEEES1J_NST_IJLi24EEEEEEENS5_IJS1C_S10_S11_S12_S13_S14_S1D_S1E_S1F_S1G_S1H_S17_S18_S1A_S19_S1I_S1J_NST_IJLi26EEEENST_IJLi27ELi28EEEENST_IJLi29EEEEEEENST_IJLi26ELi27ELi28ELi29EEEElEENSB_INS5_IJSR_SP_SP_SR_SG_SG_S2D_S2F_EEENS5_IJSU_SV_SW_SY_SX_SZ_S11_S10_EEENS5_IJS1P_SX_SY_S1Q_S11_S12_NST_IJLi9ELi10EEEES1D_EEENST_IJLi8ELi9ELi10ELi11EEEElEENS5_IJNSB_INS5_IJSK_SP_SP_NSQ_INS5_IJiNS2A_IiLi2EEENS2A_IiLi64EEEEEELb0EEES2Z_EEENS5_IJSU_SV_SW_SX_SY_EEENS5_IJS1P_SX_SY_NST_IJLi5ELi6ELi7EEEENST_IJLi8ELi9ELi10EEEEEEENST_IJLi5ELi6ELi7ELi8ELi9ELi10EEEElEEEEES36_NS_31BlockToCTileMap_M00_N00_M01_N01ILi128ELi128ES1Y_Lb0EEENS1_30ComputePtrOffsetOfStridedBatchILi1ELi1ELi1EvEELb1ELb1EEEvPKT0_S3E_T1_PT2_T3_T4_T5_iT6_T7_T8_T9_T10_T11_, .Lfunc_end10-_ZN2ck16tensor_operation6device12_GLOBAL__N_137kernel_grouped_conv_fwd_dl_multiple_dINS_32GridwiseGemmDlMultipleD_km_kn_mnILi256EaiNS_5TupleIJaEEEaNS0_12element_wise11PassThroughES8_NS7_7AddReluELNS_25InMemoryDataOperationEnumE0ENS_16TensorDescriptorINS5_IJNS_5EmbedINS5_IJiiiiiEEESD_Lb0EEENS_11PassThroughIiEENS_3PadIiiiLb0EEESI_SI_SG_SG_NSC_INS5_IJiiEEESJ_Lb0EEESK_SK_SG_NS_23Merge_v2_magic_divisionINS5_IJiiiiEEEEESN_NS_8RightPadIiiLb0EEESP_NS_7UnMergeISJ_Lb0EEESG_EEENS5_IJNS_8SequenceIJLi0EEEENST_IJLi1EEEENST_IJLi2EEEENST_IJLi3EEEENST_IJLi4EEEENST_IJLi5EEEENST_IJLi6EEEENST_IJLi7EEEENST_IJLi8EEEENST_IJLi9EEEENST_IJLi10EEEENST_IJLi11ELi13ELi15ELi17EEEENST_IJLi12ELi14ELi16ELi18EEEENST_IJLi19EEEENST_IJLi20EEEENST_IJLi22EEEENST_IJLi21EEEEEEENS5_IJNST_IJLi1ELi2ELi3ELi4ELi5EEEES10_S11_S12_S13_S14_NST_IJLi11EEEENST_IJLi12ELi13EEEENST_IJLi14ELi15EEEENST_IJLi16ELi17EEEENST_IJLi18EEEES17_S18_S1A_S19_NST_IJLi23ELi24EEEENST_IJLi25EEEEEEENST_IJLi23ELi25ELi24EEEElEENSB_INS5_IJSR_SP_SP_SR_SG_EEENS5_IJSU_SV_SW_SY_SX_EEENS5_IJNST_IJLi1ELi2EEEESX_SY_NST_IJLi5ELi6EEEES11_EEENST_IJLi5ELi7ELi6EEEElEENSB_INS5_IJSK_SP_SP_EEENS5_IJSU_SV_SW_EEENS5_IJS1P_SX_SY_EEENST_IJLi3ELi4EEEElEELi128ELi128ELi16ELi4ELi4ELi4ELi1ENST_IJLi8ELi2EEEES1Z_NST_IJLi8ELi1ELi1ELi4EEEENST_IJLi2ELi1ELi128ELi1EEEENST_IJLi1ELi2ELi0ELi3EEEES22_NST_IJLi4ELi1ELi1ELi4EEEES22_NST_IJLi1ELi1ELi1ELi4EEEES20_S21_S22_S22_S23_S22_S24_NST_IJLi0ELi1ELi2ELi3ELi4ELi5EEEELi5ELi4EEEaNS5_IJPKaEEEaS8_S8_S9_NSB_INS5_IJSE_SG_SI_SI_SI_SG_SG_SK_SK_SK_SG_SN_SN_SP_SP_SR_SG_SG_NSQ_INS5_IJiNS_17integral_constantIiLi128EEEEEELb0EEENSF_INS2A_IiLi4EEEEEEEENS5_IJSU_SV_SW_SX_SY_SZ_S10_S11_S12_S13_S14_S15_S16_S17_S18_S19_S1A_NST_IJLi23EEEES1J_NST_IJLi24EEEEEEENS5_IJS1C_S10_S11_S12_S13_S14_S1D_S1E_S1F_S1G_S1H_S17_S18_S1A_S19_S1I_S1J_NST_IJLi26EEEENST_IJLi27ELi28EEEENST_IJLi29EEEEEEENST_IJLi26ELi27ELi28ELi29EEEElEENSB_INS5_IJSR_SP_SP_SR_SG_SG_S2D_S2F_EEENS5_IJSU_SV_SW_SY_SX_SZ_S11_S10_EEENS5_IJS1P_SX_SY_S1Q_S11_S12_NST_IJLi9ELi10EEEES1D_EEENST_IJLi8ELi9ELi10ELi11EEEElEENS5_IJNSB_INS5_IJSK_SP_SP_NSQ_INS5_IJiNS2A_IiLi2EEENS2A_IiLi64EEEEEELb0EEES2Z_EEENS5_IJSU_SV_SW_SX_SY_EEENS5_IJS1P_SX_SY_NST_IJLi5ELi6ELi7EEEENST_IJLi8ELi9ELi10EEEEEEENST_IJLi5ELi6ELi7ELi8ELi9ELi10EEEElEEEEES36_NS_31BlockToCTileMap_M00_N00_M01_N01ILi128ELi128ES1Y_Lb0EEENS1_30ComputePtrOffsetOfStridedBatchILi1ELi1ELi1EvEELb1ELb1EEEvPKT0_S3E_T1_PT2_T3_T4_T5_iT6_T7_T8_T9_T10_T11_
                                        ; -- End function
	.section	.AMDGPU.csdata,"",@progbits
; Kernel info:
; codeLenInByte = 19056
; NumSgprs: 106
; NumVgprs: 91
; NumAgprs: 0
; TotalNumVgprs: 91
; ScratchSize: 480
; MemoryBound: 0
; FloatMode: 240
; IeeeMode: 1
; LDSByteSize: 32768 bytes/workgroup (compile time only)
; SGPRBlocks: 13
; VGPRBlocks: 11
; NumSGPRsForWavesPerEU: 106
; NumVGPRsForWavesPerEU: 91
; AccumOffset: 92
; Occupancy: 2
; WaveLimiterHint : 1
; COMPUTE_PGM_RSRC2:SCRATCH_EN: 1
; COMPUTE_PGM_RSRC2:USER_SGPR: 8
; COMPUTE_PGM_RSRC2:TRAP_HANDLER: 0
; COMPUTE_PGM_RSRC2:TGID_X_EN: 1
; COMPUTE_PGM_RSRC2:TGID_Y_EN: 0
; COMPUTE_PGM_RSRC2:TGID_Z_EN: 0
; COMPUTE_PGM_RSRC2:TIDIG_COMP_CNT: 0
; COMPUTE_PGM_RSRC3_GFX90A:ACCUM_OFFSET: 22
; COMPUTE_PGM_RSRC3_GFX90A:TG_SPLIT: 0
	.section	.text._ZN2ck16tensor_operation6device12_GLOBAL__N_137kernel_grouped_conv_fwd_dl_multiple_dINS_32GridwiseGemmDlMultipleD_km_kn_mnILi256EaiNS_5TupleIJaEEEaNS0_12element_wise11PassThroughES8_NS7_7AddReluELNS_25InMemoryDataOperationEnumE0ENS_16TensorDescriptorINS5_IJNS_5EmbedINS5_IJiiiiiEEESD_Lb0EEENS_11PassThroughIiEENS_3PadIiiiLb0EEESI_SI_SG_SG_NSC_INS5_IJiiEEESJ_Lb0EEESK_SK_SG_NS_23Merge_v2_magic_divisionINS5_IJiiiiEEEEESN_NS_8RightPadIiiLb0EEESP_NS_7UnMergeISJ_Lb0EEESG_EEENS5_IJNS_8SequenceIJLi0EEEENST_IJLi1EEEENST_IJLi2EEEENST_IJLi3EEEENST_IJLi4EEEENST_IJLi5EEEENST_IJLi6EEEENST_IJLi7EEEENST_IJLi8EEEENST_IJLi9EEEENST_IJLi10EEEENST_IJLi11ELi13ELi15ELi17EEEENST_IJLi12ELi14ELi16ELi18EEEENST_IJLi19EEEENST_IJLi20EEEENST_IJLi22EEEENST_IJLi21EEEEEEENS5_IJNST_IJLi1ELi2ELi3ELi4ELi5EEEES10_S11_S12_S13_S14_NST_IJLi11EEEENST_IJLi12ELi13EEEENST_IJLi14ELi15EEEENST_IJLi16ELi17EEEENST_IJLi18EEEES17_S18_S1A_S19_NST_IJLi23ELi24EEEENST_IJLi25EEEEEEENST_IJLi23ELi25ELi24EEEElEENSB_INS5_IJSR_SP_SP_SR_SG_EEENS5_IJSU_SV_SW_SY_SX_EEENS5_IJNST_IJLi1ELi2EEEESX_SY_NST_IJLi5ELi6EEEES11_EEENST_IJLi5ELi7ELi6EEEElEENSB_INS5_IJSK_SP_SP_EEENS5_IJSU_SV_SW_EEENS5_IJS1P_SX_SY_EEENST_IJLi3ELi4EEEElEELi128ELi128ELi16ELi4ELi4ELi4ELi1ENST_IJLi8ELi2EEEES1Z_NST_IJLi8ELi1ELi1ELi4EEEENST_IJLi2ELi1ELi128ELi1EEEENST_IJLi1ELi2ELi0ELi3EEEES22_NST_IJLi4ELi1ELi1ELi4EEEES22_NST_IJLi1ELi1ELi1ELi4EEEES20_S21_S22_S22_S23_S22_S24_NST_IJLi0ELi1ELi2ELi3ELi4ELi5EEEELi5ELi4EEEaNS5_IJPKaEEEaS8_S8_S9_NSB_INS5_IJSE_SG_SI_SI_SI_SG_SG_SK_SK_SK_SG_SN_SN_SP_SP_SR_SG_SG_NSQ_INS5_IJiNS_17integral_constantIiLi128EEEEEELb0EEENSF_INS2A_IiLi4EEEEEEEENS5_IJSU_SV_SW_SX_SY_SZ_S10_S11_S12_S13_S14_S15_S16_S17_S18_S19_S1A_NST_IJLi23EEEES1J_NST_IJLi24EEEEEEENS5_IJS1C_S10_S11_S12_S13_S14_S1D_S1E_S1F_S1G_S1H_S17_S18_S1A_S19_S1I_S1J_NST_IJLi26EEEENST_IJLi27ELi28EEEENST_IJLi29EEEEEEENST_IJLi26ELi27ELi28ELi29EEEElEENSB_INS5_IJSR_SP_SP_SR_SG_SG_S2D_S2F_EEENS5_IJSU_SV_SW_SY_SX_SZ_S11_S10_EEENS5_IJS1P_SX_SY_S1Q_S11_S12_NST_IJLi9ELi10EEEES1D_EEENST_IJLi8ELi9ELi10ELi11EEEElEENS5_IJNSB_INS5_IJSK_SP_SP_NSQ_INS5_IJiNS2A_IiLi2EEENS2A_IiLi64EEEEEELb0EEES2Z_EEENS5_IJSU_SV_SW_SX_SY_EEENS5_IJS1P_SX_SY_NST_IJLi5ELi6ELi7EEEENST_IJLi8ELi9ELi10EEEEEEENST_IJLi5ELi6ELi7ELi8ELi9ELi10EEEElEEEEES36_NS_31BlockToCTileMap_M00_N00_M01_N01ILi128ELi128ES1Y_Lb0EEENS1_30ComputePtrOffsetOfStridedBatchILi1ELi1ELi1EvEELb1ELb0EEEvPKT0_S3E_T1_PT2_T3_T4_T5_iT6_T7_T8_T9_T10_T11_,"axG",@progbits,_ZN2ck16tensor_operation6device12_GLOBAL__N_137kernel_grouped_conv_fwd_dl_multiple_dINS_32GridwiseGemmDlMultipleD_km_kn_mnILi256EaiNS_5TupleIJaEEEaNS0_12element_wise11PassThroughES8_NS7_7AddReluELNS_25InMemoryDataOperationEnumE0ENS_16TensorDescriptorINS5_IJNS_5EmbedINS5_IJiiiiiEEESD_Lb0EEENS_11PassThroughIiEENS_3PadIiiiLb0EEESI_SI_SG_SG_NSC_INS5_IJiiEEESJ_Lb0EEESK_SK_SG_NS_23Merge_v2_magic_divisionINS5_IJiiiiEEEEESN_NS_8RightPadIiiLb0EEESP_NS_7UnMergeISJ_Lb0EEESG_EEENS5_IJNS_8SequenceIJLi0EEEENST_IJLi1EEEENST_IJLi2EEEENST_IJLi3EEEENST_IJLi4EEEENST_IJLi5EEEENST_IJLi6EEEENST_IJLi7EEEENST_IJLi8EEEENST_IJLi9EEEENST_IJLi10EEEENST_IJLi11ELi13ELi15ELi17EEEENST_IJLi12ELi14ELi16ELi18EEEENST_IJLi19EEEENST_IJLi20EEEENST_IJLi22EEEENST_IJLi21EEEEEEENS5_IJNST_IJLi1ELi2ELi3ELi4ELi5EEEES10_S11_S12_S13_S14_NST_IJLi11EEEENST_IJLi12ELi13EEEENST_IJLi14ELi15EEEENST_IJLi16ELi17EEEENST_IJLi18EEEES17_S18_S1A_S19_NST_IJLi23ELi24EEEENST_IJLi25EEEEEEENST_IJLi23ELi25ELi24EEEElEENSB_INS5_IJSR_SP_SP_SR_SG_EEENS5_IJSU_SV_SW_SY_SX_EEENS5_IJNST_IJLi1ELi2EEEESX_SY_NST_IJLi5ELi6EEEES11_EEENST_IJLi5ELi7ELi6EEEElEENSB_INS5_IJSK_SP_SP_EEENS5_IJSU_SV_SW_EEENS5_IJS1P_SX_SY_EEENST_IJLi3ELi4EEEElEELi128ELi128ELi16ELi4ELi4ELi4ELi1ENST_IJLi8ELi2EEEES1Z_NST_IJLi8ELi1ELi1ELi4EEEENST_IJLi2ELi1ELi128ELi1EEEENST_IJLi1ELi2ELi0ELi3EEEES22_NST_IJLi4ELi1ELi1ELi4EEEES22_NST_IJLi1ELi1ELi1ELi4EEEES20_S21_S22_S22_S23_S22_S24_NST_IJLi0ELi1ELi2ELi3ELi4ELi5EEEELi5ELi4EEEaNS5_IJPKaEEEaS8_S8_S9_NSB_INS5_IJSE_SG_SI_SI_SI_SG_SG_SK_SK_SK_SG_SN_SN_SP_SP_SR_SG_SG_NSQ_INS5_IJiNS_17integral_constantIiLi128EEEEEELb0EEENSF_INS2A_IiLi4EEEEEEEENS5_IJSU_SV_SW_SX_SY_SZ_S10_S11_S12_S13_S14_S15_S16_S17_S18_S19_S1A_NST_IJLi23EEEES1J_NST_IJLi24EEEEEEENS5_IJS1C_S10_S11_S12_S13_S14_S1D_S1E_S1F_S1G_S1H_S17_S18_S1A_S19_S1I_S1J_NST_IJLi26EEEENST_IJLi27ELi28EEEENST_IJLi29EEEEEEENST_IJLi26ELi27ELi28ELi29EEEElEENSB_INS5_IJSR_SP_SP_SR_SG_SG_S2D_S2F_EEENS5_IJSU_SV_SW_SY_SX_SZ_S11_S10_EEENS5_IJS1P_SX_SY_S1Q_S11_S12_NST_IJLi9ELi10EEEES1D_EEENST_IJLi8ELi9ELi10ELi11EEEElEENS5_IJNSB_INS5_IJSK_SP_SP_NSQ_INS5_IJiNS2A_IiLi2EEENS2A_IiLi64EEEEEELb0EEES2Z_EEENS5_IJSU_SV_SW_SX_SY_EEENS5_IJS1P_SX_SY_NST_IJLi5ELi6ELi7EEEENST_IJLi8ELi9ELi10EEEEEEENST_IJLi5ELi6ELi7ELi8ELi9ELi10EEEElEEEEES36_NS_31BlockToCTileMap_M00_N00_M01_N01ILi128ELi128ES1Y_Lb0EEENS1_30ComputePtrOffsetOfStridedBatchILi1ELi1ELi1EvEELb1ELb0EEEvPKT0_S3E_T1_PT2_T3_T4_T5_iT6_T7_T8_T9_T10_T11_,comdat
	.globl	_ZN2ck16tensor_operation6device12_GLOBAL__N_137kernel_grouped_conv_fwd_dl_multiple_dINS_32GridwiseGemmDlMultipleD_km_kn_mnILi256EaiNS_5TupleIJaEEEaNS0_12element_wise11PassThroughES8_NS7_7AddReluELNS_25InMemoryDataOperationEnumE0ENS_16TensorDescriptorINS5_IJNS_5EmbedINS5_IJiiiiiEEESD_Lb0EEENS_11PassThroughIiEENS_3PadIiiiLb0EEESI_SI_SG_SG_NSC_INS5_IJiiEEESJ_Lb0EEESK_SK_SG_NS_23Merge_v2_magic_divisionINS5_IJiiiiEEEEESN_NS_8RightPadIiiLb0EEESP_NS_7UnMergeISJ_Lb0EEESG_EEENS5_IJNS_8SequenceIJLi0EEEENST_IJLi1EEEENST_IJLi2EEEENST_IJLi3EEEENST_IJLi4EEEENST_IJLi5EEEENST_IJLi6EEEENST_IJLi7EEEENST_IJLi8EEEENST_IJLi9EEEENST_IJLi10EEEENST_IJLi11ELi13ELi15ELi17EEEENST_IJLi12ELi14ELi16ELi18EEEENST_IJLi19EEEENST_IJLi20EEEENST_IJLi22EEEENST_IJLi21EEEEEEENS5_IJNST_IJLi1ELi2ELi3ELi4ELi5EEEES10_S11_S12_S13_S14_NST_IJLi11EEEENST_IJLi12ELi13EEEENST_IJLi14ELi15EEEENST_IJLi16ELi17EEEENST_IJLi18EEEES17_S18_S1A_S19_NST_IJLi23ELi24EEEENST_IJLi25EEEEEEENST_IJLi23ELi25ELi24EEEElEENSB_INS5_IJSR_SP_SP_SR_SG_EEENS5_IJSU_SV_SW_SY_SX_EEENS5_IJNST_IJLi1ELi2EEEESX_SY_NST_IJLi5ELi6EEEES11_EEENST_IJLi5ELi7ELi6EEEElEENSB_INS5_IJSK_SP_SP_EEENS5_IJSU_SV_SW_EEENS5_IJS1P_SX_SY_EEENST_IJLi3ELi4EEEElEELi128ELi128ELi16ELi4ELi4ELi4ELi1ENST_IJLi8ELi2EEEES1Z_NST_IJLi8ELi1ELi1ELi4EEEENST_IJLi2ELi1ELi128ELi1EEEENST_IJLi1ELi2ELi0ELi3EEEES22_NST_IJLi4ELi1ELi1ELi4EEEES22_NST_IJLi1ELi1ELi1ELi4EEEES20_S21_S22_S22_S23_S22_S24_NST_IJLi0ELi1ELi2ELi3ELi4ELi5EEEELi5ELi4EEEaNS5_IJPKaEEEaS8_S8_S9_NSB_INS5_IJSE_SG_SI_SI_SI_SG_SG_SK_SK_SK_SG_SN_SN_SP_SP_SR_SG_SG_NSQ_INS5_IJiNS_17integral_constantIiLi128EEEEEELb0EEENSF_INS2A_IiLi4EEEEEEEENS5_IJSU_SV_SW_SX_SY_SZ_S10_S11_S12_S13_S14_S15_S16_S17_S18_S19_S1A_NST_IJLi23EEEES1J_NST_IJLi24EEEEEEENS5_IJS1C_S10_S11_S12_S13_S14_S1D_S1E_S1F_S1G_S1H_S17_S18_S1A_S19_S1I_S1J_NST_IJLi26EEEENST_IJLi27ELi28EEEENST_IJLi29EEEEEEENST_IJLi26ELi27ELi28ELi29EEEElEENSB_INS5_IJSR_SP_SP_SR_SG_SG_S2D_S2F_EEENS5_IJSU_SV_SW_SY_SX_SZ_S11_S10_EEENS5_IJS1P_SX_SY_S1Q_S11_S12_NST_IJLi9ELi10EEEES1D_EEENST_IJLi8ELi9ELi10ELi11EEEElEENS5_IJNSB_INS5_IJSK_SP_SP_NSQ_INS5_IJiNS2A_IiLi2EEENS2A_IiLi64EEEEEELb0EEES2Z_EEENS5_IJSU_SV_SW_SX_SY_EEENS5_IJS1P_SX_SY_NST_IJLi5ELi6ELi7EEEENST_IJLi8ELi9ELi10EEEEEEENST_IJLi5ELi6ELi7ELi8ELi9ELi10EEEElEEEEES36_NS_31BlockToCTileMap_M00_N00_M01_N01ILi128ELi128ES1Y_Lb0EEENS1_30ComputePtrOffsetOfStridedBatchILi1ELi1ELi1EvEELb1ELb0EEEvPKT0_S3E_T1_PT2_T3_T4_T5_iT6_T7_T8_T9_T10_T11_ ; -- Begin function _ZN2ck16tensor_operation6device12_GLOBAL__N_137kernel_grouped_conv_fwd_dl_multiple_dINS_32GridwiseGemmDlMultipleD_km_kn_mnILi256EaiNS_5TupleIJaEEEaNS0_12element_wise11PassThroughES8_NS7_7AddReluELNS_25InMemoryDataOperationEnumE0ENS_16TensorDescriptorINS5_IJNS_5EmbedINS5_IJiiiiiEEESD_Lb0EEENS_11PassThroughIiEENS_3PadIiiiLb0EEESI_SI_SG_SG_NSC_INS5_IJiiEEESJ_Lb0EEESK_SK_SG_NS_23Merge_v2_magic_divisionINS5_IJiiiiEEEEESN_NS_8RightPadIiiLb0EEESP_NS_7UnMergeISJ_Lb0EEESG_EEENS5_IJNS_8SequenceIJLi0EEEENST_IJLi1EEEENST_IJLi2EEEENST_IJLi3EEEENST_IJLi4EEEENST_IJLi5EEEENST_IJLi6EEEENST_IJLi7EEEENST_IJLi8EEEENST_IJLi9EEEENST_IJLi10EEEENST_IJLi11ELi13ELi15ELi17EEEENST_IJLi12ELi14ELi16ELi18EEEENST_IJLi19EEEENST_IJLi20EEEENST_IJLi22EEEENST_IJLi21EEEEEEENS5_IJNST_IJLi1ELi2ELi3ELi4ELi5EEEES10_S11_S12_S13_S14_NST_IJLi11EEEENST_IJLi12ELi13EEEENST_IJLi14ELi15EEEENST_IJLi16ELi17EEEENST_IJLi18EEEES17_S18_S1A_S19_NST_IJLi23ELi24EEEENST_IJLi25EEEEEEENST_IJLi23ELi25ELi24EEEElEENSB_INS5_IJSR_SP_SP_SR_SG_EEENS5_IJSU_SV_SW_SY_SX_EEENS5_IJNST_IJLi1ELi2EEEESX_SY_NST_IJLi5ELi6EEEES11_EEENST_IJLi5ELi7ELi6EEEElEENSB_INS5_IJSK_SP_SP_EEENS5_IJSU_SV_SW_EEENS5_IJS1P_SX_SY_EEENST_IJLi3ELi4EEEElEELi128ELi128ELi16ELi4ELi4ELi4ELi1ENST_IJLi8ELi2EEEES1Z_NST_IJLi8ELi1ELi1ELi4EEEENST_IJLi2ELi1ELi128ELi1EEEENST_IJLi1ELi2ELi0ELi3EEEES22_NST_IJLi4ELi1ELi1ELi4EEEES22_NST_IJLi1ELi1ELi1ELi4EEEES20_S21_S22_S22_S23_S22_S24_NST_IJLi0ELi1ELi2ELi3ELi4ELi5EEEELi5ELi4EEEaNS5_IJPKaEEEaS8_S8_S9_NSB_INS5_IJSE_SG_SI_SI_SI_SG_SG_SK_SK_SK_SG_SN_SN_SP_SP_SR_SG_SG_NSQ_INS5_IJiNS_17integral_constantIiLi128EEEEEELb0EEENSF_INS2A_IiLi4EEEEEEEENS5_IJSU_SV_SW_SX_SY_SZ_S10_S11_S12_S13_S14_S15_S16_S17_S18_S19_S1A_NST_IJLi23EEEES1J_NST_IJLi24EEEEEEENS5_IJS1C_S10_S11_S12_S13_S14_S1D_S1E_S1F_S1G_S1H_S17_S18_S1A_S19_S1I_S1J_NST_IJLi26EEEENST_IJLi27ELi28EEEENST_IJLi29EEEEEEENST_IJLi26ELi27ELi28ELi29EEEElEENSB_INS5_IJSR_SP_SP_SR_SG_SG_S2D_S2F_EEENS5_IJSU_SV_SW_SY_SX_SZ_S11_S10_EEENS5_IJS1P_SX_SY_S1Q_S11_S12_NST_IJLi9ELi10EEEES1D_EEENST_IJLi8ELi9ELi10ELi11EEEElEENS5_IJNSB_INS5_IJSK_SP_SP_NSQ_INS5_IJiNS2A_IiLi2EEENS2A_IiLi64EEEEEELb0EEES2Z_EEENS5_IJSU_SV_SW_SX_SY_EEENS5_IJS1P_SX_SY_NST_IJLi5ELi6ELi7EEEENST_IJLi8ELi9ELi10EEEEEEENST_IJLi5ELi6ELi7ELi8ELi9ELi10EEEElEEEEES36_NS_31BlockToCTileMap_M00_N00_M01_N01ILi128ELi128ES1Y_Lb0EEENS1_30ComputePtrOffsetOfStridedBatchILi1ELi1ELi1EvEELb1ELb0EEEvPKT0_S3E_T1_PT2_T3_T4_T5_iT6_T7_T8_T9_T10_T11_
	.p2align	8
	.type	_ZN2ck16tensor_operation6device12_GLOBAL__N_137kernel_grouped_conv_fwd_dl_multiple_dINS_32GridwiseGemmDlMultipleD_km_kn_mnILi256EaiNS_5TupleIJaEEEaNS0_12element_wise11PassThroughES8_NS7_7AddReluELNS_25InMemoryDataOperationEnumE0ENS_16TensorDescriptorINS5_IJNS_5EmbedINS5_IJiiiiiEEESD_Lb0EEENS_11PassThroughIiEENS_3PadIiiiLb0EEESI_SI_SG_SG_NSC_INS5_IJiiEEESJ_Lb0EEESK_SK_SG_NS_23Merge_v2_magic_divisionINS5_IJiiiiEEEEESN_NS_8RightPadIiiLb0EEESP_NS_7UnMergeISJ_Lb0EEESG_EEENS5_IJNS_8SequenceIJLi0EEEENST_IJLi1EEEENST_IJLi2EEEENST_IJLi3EEEENST_IJLi4EEEENST_IJLi5EEEENST_IJLi6EEEENST_IJLi7EEEENST_IJLi8EEEENST_IJLi9EEEENST_IJLi10EEEENST_IJLi11ELi13ELi15ELi17EEEENST_IJLi12ELi14ELi16ELi18EEEENST_IJLi19EEEENST_IJLi20EEEENST_IJLi22EEEENST_IJLi21EEEEEEENS5_IJNST_IJLi1ELi2ELi3ELi4ELi5EEEES10_S11_S12_S13_S14_NST_IJLi11EEEENST_IJLi12ELi13EEEENST_IJLi14ELi15EEEENST_IJLi16ELi17EEEENST_IJLi18EEEES17_S18_S1A_S19_NST_IJLi23ELi24EEEENST_IJLi25EEEEEEENST_IJLi23ELi25ELi24EEEElEENSB_INS5_IJSR_SP_SP_SR_SG_EEENS5_IJSU_SV_SW_SY_SX_EEENS5_IJNST_IJLi1ELi2EEEESX_SY_NST_IJLi5ELi6EEEES11_EEENST_IJLi5ELi7ELi6EEEElEENSB_INS5_IJSK_SP_SP_EEENS5_IJSU_SV_SW_EEENS5_IJS1P_SX_SY_EEENST_IJLi3ELi4EEEElEELi128ELi128ELi16ELi4ELi4ELi4ELi1ENST_IJLi8ELi2EEEES1Z_NST_IJLi8ELi1ELi1ELi4EEEENST_IJLi2ELi1ELi128ELi1EEEENST_IJLi1ELi2ELi0ELi3EEEES22_NST_IJLi4ELi1ELi1ELi4EEEES22_NST_IJLi1ELi1ELi1ELi4EEEES20_S21_S22_S22_S23_S22_S24_NST_IJLi0ELi1ELi2ELi3ELi4ELi5EEEELi5ELi4EEEaNS5_IJPKaEEEaS8_S8_S9_NSB_INS5_IJSE_SG_SI_SI_SI_SG_SG_SK_SK_SK_SG_SN_SN_SP_SP_SR_SG_SG_NSQ_INS5_IJiNS_17integral_constantIiLi128EEEEEELb0EEENSF_INS2A_IiLi4EEEEEEEENS5_IJSU_SV_SW_SX_SY_SZ_S10_S11_S12_S13_S14_S15_S16_S17_S18_S19_S1A_NST_IJLi23EEEES1J_NST_IJLi24EEEEEEENS5_IJS1C_S10_S11_S12_S13_S14_S1D_S1E_S1F_S1G_S1H_S17_S18_S1A_S19_S1I_S1J_NST_IJLi26EEEENST_IJLi27ELi28EEEENST_IJLi29EEEEEEENST_IJLi26ELi27ELi28ELi29EEEElEENSB_INS5_IJSR_SP_SP_SR_SG_SG_S2D_S2F_EEENS5_IJSU_SV_SW_SY_SX_SZ_S11_S10_EEENS5_IJS1P_SX_SY_S1Q_S11_S12_NST_IJLi9ELi10EEEES1D_EEENST_IJLi8ELi9ELi10ELi11EEEElEENS5_IJNSB_INS5_IJSK_SP_SP_NSQ_INS5_IJiNS2A_IiLi2EEENS2A_IiLi64EEEEEELb0EEES2Z_EEENS5_IJSU_SV_SW_SX_SY_EEENS5_IJS1P_SX_SY_NST_IJLi5ELi6ELi7EEEENST_IJLi8ELi9ELi10EEEEEEENST_IJLi5ELi6ELi7ELi8ELi9ELi10EEEElEEEEES36_NS_31BlockToCTileMap_M00_N00_M01_N01ILi128ELi128ES1Y_Lb0EEENS1_30ComputePtrOffsetOfStridedBatchILi1ELi1ELi1EvEELb1ELb0EEEvPKT0_S3E_T1_PT2_T3_T4_T5_iT6_T7_T8_T9_T10_T11_,@function
_ZN2ck16tensor_operation6device12_GLOBAL__N_137kernel_grouped_conv_fwd_dl_multiple_dINS_32GridwiseGemmDlMultipleD_km_kn_mnILi256EaiNS_5TupleIJaEEEaNS0_12element_wise11PassThroughES8_NS7_7AddReluELNS_25InMemoryDataOperationEnumE0ENS_16TensorDescriptorINS5_IJNS_5EmbedINS5_IJiiiiiEEESD_Lb0EEENS_11PassThroughIiEENS_3PadIiiiLb0EEESI_SI_SG_SG_NSC_INS5_IJiiEEESJ_Lb0EEESK_SK_SG_NS_23Merge_v2_magic_divisionINS5_IJiiiiEEEEESN_NS_8RightPadIiiLb0EEESP_NS_7UnMergeISJ_Lb0EEESG_EEENS5_IJNS_8SequenceIJLi0EEEENST_IJLi1EEEENST_IJLi2EEEENST_IJLi3EEEENST_IJLi4EEEENST_IJLi5EEEENST_IJLi6EEEENST_IJLi7EEEENST_IJLi8EEEENST_IJLi9EEEENST_IJLi10EEEENST_IJLi11ELi13ELi15ELi17EEEENST_IJLi12ELi14ELi16ELi18EEEENST_IJLi19EEEENST_IJLi20EEEENST_IJLi22EEEENST_IJLi21EEEEEEENS5_IJNST_IJLi1ELi2ELi3ELi4ELi5EEEES10_S11_S12_S13_S14_NST_IJLi11EEEENST_IJLi12ELi13EEEENST_IJLi14ELi15EEEENST_IJLi16ELi17EEEENST_IJLi18EEEES17_S18_S1A_S19_NST_IJLi23ELi24EEEENST_IJLi25EEEEEEENST_IJLi23ELi25ELi24EEEElEENSB_INS5_IJSR_SP_SP_SR_SG_EEENS5_IJSU_SV_SW_SY_SX_EEENS5_IJNST_IJLi1ELi2EEEESX_SY_NST_IJLi5ELi6EEEES11_EEENST_IJLi5ELi7ELi6EEEElEENSB_INS5_IJSK_SP_SP_EEENS5_IJSU_SV_SW_EEENS5_IJS1P_SX_SY_EEENST_IJLi3ELi4EEEElEELi128ELi128ELi16ELi4ELi4ELi4ELi1ENST_IJLi8ELi2EEEES1Z_NST_IJLi8ELi1ELi1ELi4EEEENST_IJLi2ELi1ELi128ELi1EEEENST_IJLi1ELi2ELi0ELi3EEEES22_NST_IJLi4ELi1ELi1ELi4EEEES22_NST_IJLi1ELi1ELi1ELi4EEEES20_S21_S22_S22_S23_S22_S24_NST_IJLi0ELi1ELi2ELi3ELi4ELi5EEEELi5ELi4EEEaNS5_IJPKaEEEaS8_S8_S9_NSB_INS5_IJSE_SG_SI_SI_SI_SG_SG_SK_SK_SK_SG_SN_SN_SP_SP_SR_SG_SG_NSQ_INS5_IJiNS_17integral_constantIiLi128EEEEEELb0EEENSF_INS2A_IiLi4EEEEEEEENS5_IJSU_SV_SW_SX_SY_SZ_S10_S11_S12_S13_S14_S15_S16_S17_S18_S19_S1A_NST_IJLi23EEEES1J_NST_IJLi24EEEEEEENS5_IJS1C_S10_S11_S12_S13_S14_S1D_S1E_S1F_S1G_S1H_S17_S18_S1A_S19_S1I_S1J_NST_IJLi26EEEENST_IJLi27ELi28EEEENST_IJLi29EEEEEEENST_IJLi26ELi27ELi28ELi29EEEElEENSB_INS5_IJSR_SP_SP_SR_SG_SG_S2D_S2F_EEENS5_IJSU_SV_SW_SY_SX_SZ_S11_S10_EEENS5_IJS1P_SX_SY_S1Q_S11_S12_NST_IJLi9ELi10EEEES1D_EEENST_IJLi8ELi9ELi10ELi11EEEElEENS5_IJNSB_INS5_IJSK_SP_SP_NSQ_INS5_IJiNS2A_IiLi2EEENS2A_IiLi64EEEEEELb0EEES2Z_EEENS5_IJSU_SV_SW_SX_SY_EEENS5_IJS1P_SX_SY_NST_IJLi5ELi6ELi7EEEENST_IJLi8ELi9ELi10EEEEEEENST_IJLi5ELi6ELi7ELi8ELi9ELi10EEEElEEEEES36_NS_31BlockToCTileMap_M00_N00_M01_N01ILi128ELi128ES1Y_Lb0EEENS1_30ComputePtrOffsetOfStridedBatchILi1ELi1ELi1EvEELb1ELb0EEEvPKT0_S3E_T1_PT2_T3_T4_T5_iT6_T7_T8_T9_T10_T11_: ; @_ZN2ck16tensor_operation6device12_GLOBAL__N_137kernel_grouped_conv_fwd_dl_multiple_dINS_32GridwiseGemmDlMultipleD_km_kn_mnILi256EaiNS_5TupleIJaEEEaNS0_12element_wise11PassThroughES8_NS7_7AddReluELNS_25InMemoryDataOperationEnumE0ENS_16TensorDescriptorINS5_IJNS_5EmbedINS5_IJiiiiiEEESD_Lb0EEENS_11PassThroughIiEENS_3PadIiiiLb0EEESI_SI_SG_SG_NSC_INS5_IJiiEEESJ_Lb0EEESK_SK_SG_NS_23Merge_v2_magic_divisionINS5_IJiiiiEEEEESN_NS_8RightPadIiiLb0EEESP_NS_7UnMergeISJ_Lb0EEESG_EEENS5_IJNS_8SequenceIJLi0EEEENST_IJLi1EEEENST_IJLi2EEEENST_IJLi3EEEENST_IJLi4EEEENST_IJLi5EEEENST_IJLi6EEEENST_IJLi7EEEENST_IJLi8EEEENST_IJLi9EEEENST_IJLi10EEEENST_IJLi11ELi13ELi15ELi17EEEENST_IJLi12ELi14ELi16ELi18EEEENST_IJLi19EEEENST_IJLi20EEEENST_IJLi22EEEENST_IJLi21EEEEEEENS5_IJNST_IJLi1ELi2ELi3ELi4ELi5EEEES10_S11_S12_S13_S14_NST_IJLi11EEEENST_IJLi12ELi13EEEENST_IJLi14ELi15EEEENST_IJLi16ELi17EEEENST_IJLi18EEEES17_S18_S1A_S19_NST_IJLi23ELi24EEEENST_IJLi25EEEEEEENST_IJLi23ELi25ELi24EEEElEENSB_INS5_IJSR_SP_SP_SR_SG_EEENS5_IJSU_SV_SW_SY_SX_EEENS5_IJNST_IJLi1ELi2EEEESX_SY_NST_IJLi5ELi6EEEES11_EEENST_IJLi5ELi7ELi6EEEElEENSB_INS5_IJSK_SP_SP_EEENS5_IJSU_SV_SW_EEENS5_IJS1P_SX_SY_EEENST_IJLi3ELi4EEEElEELi128ELi128ELi16ELi4ELi4ELi4ELi1ENST_IJLi8ELi2EEEES1Z_NST_IJLi8ELi1ELi1ELi4EEEENST_IJLi2ELi1ELi128ELi1EEEENST_IJLi1ELi2ELi0ELi3EEEES22_NST_IJLi4ELi1ELi1ELi4EEEES22_NST_IJLi1ELi1ELi1ELi4EEEES20_S21_S22_S22_S23_S22_S24_NST_IJLi0ELi1ELi2ELi3ELi4ELi5EEEELi5ELi4EEEaNS5_IJPKaEEEaS8_S8_S9_NSB_INS5_IJSE_SG_SI_SI_SI_SG_SG_SK_SK_SK_SG_SN_SN_SP_SP_SR_SG_SG_NSQ_INS5_IJiNS_17integral_constantIiLi128EEEEEELb0EEENSF_INS2A_IiLi4EEEEEEEENS5_IJSU_SV_SW_SX_SY_SZ_S10_S11_S12_S13_S14_S15_S16_S17_S18_S19_S1A_NST_IJLi23EEEES1J_NST_IJLi24EEEEEEENS5_IJS1C_S10_S11_S12_S13_S14_S1D_S1E_S1F_S1G_S1H_S17_S18_S1A_S19_S1I_S1J_NST_IJLi26EEEENST_IJLi27ELi28EEEENST_IJLi29EEEEEEENST_IJLi26ELi27ELi28ELi29EEEElEENSB_INS5_IJSR_SP_SP_SR_SG_SG_S2D_S2F_EEENS5_IJSU_SV_SW_SY_SX_SZ_S11_S10_EEENS5_IJS1P_SX_SY_S1Q_S11_S12_NST_IJLi9ELi10EEEES1D_EEENST_IJLi8ELi9ELi10ELi11EEEElEENS5_IJNSB_INS5_IJSK_SP_SP_NSQ_INS5_IJiNS2A_IiLi2EEENS2A_IiLi64EEEEEELb0EEES2Z_EEENS5_IJSU_SV_SW_SX_SY_EEENS5_IJS1P_SX_SY_NST_IJLi5ELi6ELi7EEEENST_IJLi8ELi9ELi10EEEEEEENST_IJLi5ELi6ELi7ELi8ELi9ELi10EEEElEEEEES36_NS_31BlockToCTileMap_M00_N00_M01_N01ILi128ELi128ES1Y_Lb0EEENS1_30ComputePtrOffsetOfStridedBatchILi1ELi1ELi1EvEELb1ELb0EEEvPKT0_S3E_T1_PT2_T3_T4_T5_iT6_T7_T8_T9_T10_T11_
; %bb.0:
	s_add_u32 flat_scratch_lo, s6, s9
	s_addc_u32 flat_scratch_hi, s7, 0
	s_add_u32 s0, s0, s9
	s_mov_b64 s[6:7], s[4:5]
	s_load_dwordx4 s[60:63], s[4:5], 0x0
	s_load_dwordx2 s[80:81], s[4:5], 0x18
	s_nop 0
	s_load_dword s4, s[4:5], 0x24
	s_nop 0
	s_load_dwordx4 s[52:55], s[6:7], 0x3c
	s_load_dword s86, s[6:7], 0x4c
	s_load_dwordx8 s[20:27], s[6:7], 0x54
	s_load_dwordx2 s[82:83], s[6:7], 0x88
	s_addc_u32 s1, s1, 0
	s_waitcnt lgkmcnt(0)
	s_abs_i32 s5, s4
	v_cvt_f32_u32_e32 v1, s5
	s_load_dwordx2 s[84:85], s[6:7], 0xa8
	s_load_dword s9, s[6:7], 0x300
	s_load_dwordx8 s[44:51], s[6:7], 0xb8
	s_sub_i32 s10, 0, s5
	s_load_dwordx4 s[28:31], s[6:7], 0xd8
	s_load_dwordx8 s[36:43], s[6:7], 0xec
	v_rcp_iflag_f32_e32 v1, v1
	s_waitcnt lgkmcnt(0)
	s_xor_b32 s4, s9, s4
	s_abs_i32 s9, s9
	s_ashr_i32 s4, s4, 31
	v_mul_f32_e32 v1, 0x4f7ffffe, v1
	v_cvt_u32_f32_e32 v1, v1
	v_lshrrev_b32_e32 v5, 5, v0
	v_lshlrev_b32_e32 v7, 1, v0
	v_lshlrev_b32_e32 v6, 6, v5
	v_readfirstlane_b32 s11, v1
	s_mul_i32 s10, s10, s11
	s_mul_hi_u32 s10, s11, s10
	s_add_i32 s11, s11, s10
	s_mul_hi_u32 s10, s9, s11
	s_mul_i32 s11, s10, s5
	s_sub_i32 s9, s9, s11
	s_add_i32 s11, s10, 1
	s_sub_i32 s12, s9, s5
	s_cmp_ge_u32 s9, s5
	s_cselect_b32 s10, s11, s10
	s_cselect_b32 s9, s12, s9
	s_add_i32 s11, s10, 1
	s_cmp_ge_u32 s9, s5
	s_cselect_b32 s5, s11, s10
	s_xor_b32 s5, s5, s4
	s_sub_i32 s5, s5, s4
	s_abs_i32 s9, s5
	v_cvt_f32_u32_e32 v1, s9
	s_sub_i32 s11, 0, s9
	s_abs_i32 s10, s8
	s_xor_b32 s5, s8, s5
	v_rcp_iflag_f32_e32 v1, v1
	s_ashr_i32 s5, s5, 31
	s_load_dwordx4 s[56:59], s[6:7], 0x10c
	s_load_dword s4, s[6:7], 0x120
	s_load_dword s87, s[6:7], 0x12c
	;; [unrolled: 1-line block ×3, first 2 shown]
	s_load_dwordx4 s[68:71], s[6:7], 0x298
	s_load_dwordx4 s[72:75], s[6:7], 0x2ac
	;; [unrolled: 1-line block ×3, first 2 shown]
	s_load_dwordx8 s[12:19], s[6:7], 0x2d8
	v_mul_f32_e32 v1, 0x4f7ffffe, v1
	v_cvt_u32_f32_e32 v1, v1
	v_and_b32_e32 v8, 0x1f8, v7
	v_lshrrev_b32_e32 v22, 1, v0
	v_sub_u32_e32 v6, v8, v6
	v_readfirstlane_b32 s33, v1
	s_mul_i32 s11, s11, s33
	s_mul_hi_u32 s11, s33, s11
	s_add_i32 s33, s33, s11
	s_mul_hi_u32 s11, s10, s33
	s_mul_i32 s33, s11, s9
	s_sub_i32 s10, s10, s33
	s_add_i32 s33, s11, 1
	s_sub_i32 s34, s10, s9
	s_cmp_ge_u32 s10, s9
	s_cselect_b32 s11, s33, s11
	s_cselect_b32 s10, s34, s10
	s_add_i32 s33, s11, 1
	s_cmp_ge_u32 s10, s9
	s_cselect_b32 s9, s33, s11
	s_xor_b32 s9, s9, s5
	s_sub_i32 s51, s9, s5
	s_waitcnt lgkmcnt(0)
	s_ashr_i32 s59, s51, 31
	s_mul_i32 s5, s12, s59
	s_mul_hi_u32 s9, s12, s51
	s_add_i32 s5, s9, s5
	s_mul_i32 s9, s13, s51
	s_add_i32 s5, s5, s9
	s_mul_i32 s9, s12, s51
	s_mul_i32 s10, s14, s59
	s_mul_hi_u32 s11, s14, s51
	s_mul_i32 s12, s18, s59
	s_mul_hi_u32 s13, s18, s51
	s_add_i32 s10, s11, s10
	s_mul_i32 s11, s15, s51
	s_add_i32 s12, s13, s12
	s_mul_i32 s13, s19, s51
	s_add_i32 s10, s10, s11
	s_add_i32 s83, s12, s13
	s_add_u32 s60, s60, s9
	s_mul_i32 s11, s14, s51
	s_addc_u32 s61, s61, s5
	s_add_u32 s64, s62, s11
	s_mul_hi_u32 s9, s75, s8
	s_addc_u32 s65, s63, s10
	s_add_i32 s9, s8, s9
	s_lshr_b32 s9, s9, s79
	s_mul_i32 s10, s9, s71
	s_sub_i32 s8, s8, s10
	s_mul_hi_u32 s10, s9, s74
	s_add_i32 s10, s9, s10
	s_lshr_b32 s10, s10, s78
	s_mul_i32 s11, s10, s70
	s_sub_i32 s47, s9, s11
	s_mul_hi_u32 s9, s10, s73
	s_add_i32 s9, s10, s9
	v_lshlrev_b32_e32 v1, 3, v0
	s_lshr_b32 s9, s9, s77
	v_and_b32_e32 v23, 8, v1
	s_mul_i32 s11, s9, s69
	v_mul_lo_u32 v25, s31, v23
	s_load_dword s62, s[6:7], 0x160
	s_load_dword s5, s[6:7], 0x170
	;; [unrolled: 1-line block ×6, first 2 shown]
	s_load_dwordx2 s[34:35], s[6:7], 0x1d0
	s_sub_i32 s10, s10, s11
	s_load_dword s11, s[6:7], 0x27c
	s_load_dword s12, s[6:7], 0x28c
	s_mul_hi_u32 s13, s9, s72
	v_mul_hi_u32 v1, v25, s42
	v_lshlrev_b32_e32 v0, 2, v0
	s_add_i32 s13, s9, s13
	v_add_u32_e32 v1, v25, v1
	v_and_or_b32 v39, v0, 4, v6
	v_and_b32_e32 v0, 0x1fc, v7
	s_lshr_b32 s13, s13, s76
	v_lshrrev_b32_e32 v1, s58, v1
	v_sub_u32_e32 v0, v0, v8
	s_mul_i32 s13, s13, s68
	v_mul_hi_u32 v2, v1, s41
	v_lshl_add_u32 v40, v5, 3, v0
	s_sub_i32 s13, s9, s13
	v_add_u32_e32 v2, v1, v2
	v_mov_b32_e32 v41, 0
	v_lshlrev_b32_e32 v0, 2, v40
	s_waitcnt lgkmcnt(0)
	s_mul_i32 s9, s10, s12
	s_mul_i32 s13, s13, s11
	v_lshrrev_b32_e32 v2, s57, v2
	buffer_store_dword v41, off, s[0:3], 0 offset:64
	buffer_store_dword v40, off, s[0:3], 0 offset:68
	;; [unrolled: 1-line block ×12, first 2 shown]
	v_lshlrev_b32_e32 v0, 2, v39
	s_mov_b64 s[10:11], src_shared_base
	s_add_i32 s47, s47, s13
	v_mul_hi_u32 v3, v2, s40
	buffer_store_dword v0, off, s[0:3], 0 offset:112
	buffer_store_dword v41, off, s[0:3], 0 offset:116
	;; [unrolled: 1-line block ×72, first 2 shown]
	v_mov_b32_e32 v0, s11
	v_mov_b32_e32 v5, 0x4000
	v_lshl_or_b32 v24, s47, 7, v22
	v_add_u32_e32 v3, v2, v3
	buffer_store_dword v0, off, s[0:3], 0 offset:404
	buffer_store_dword v41, off, s[0:3], 0 offset:400
	buffer_store_byte v41, off, s[0:3], 0 offset:409
	buffer_store_dword v0, off, s[0:3], 0 offset:420
	buffer_store_dword v5, off, s[0:3], 0 offset:416
	buffer_store_byte v41, off, s[0:3], 0 offset:425
	buffer_store_dword v0, off, s[0:3], 0 offset:436
	v_mov_b32_e32 v5, 0x2000
	v_mul_hi_u32 v4, v24, s50
	buffer_store_dword v5, off, s[0:3], 0 offset:432
	buffer_store_byte v41, off, s[0:3], 0 offset:441
	buffer_store_dword v0, off, s[0:3], 0 offset:452
	v_mov_b32_e32 v0, 0x6000
	v_lshrrev_b32_e32 v9, s56, v3
	v_add_u32_e32 v4, v24, v4
	buffer_store_dword v0, off, s[0:3], 0 offset:448
	buffer_store_byte v41, off, s[0:3], 0 offset:457
	v_mul_lo_u32 v0, v1, s38
	v_mul_lo_u32 v3, v9, s36
	v_sub_u32_e32 v5, v25, v0
	v_mul_lo_u32 v0, v2, s37
	v_sub_u32_e32 v10, v2, v3
	v_lshrrev_b32_e32 v2, s30, v4
	v_mul_hi_u32 v4, v2, s49
	v_add_u32_e32 v4, v2, v4
	v_lshrrev_b32_e32 v4, s29, v4
	s_load_dwordx2 s[12:13], s[6:7], 0x98
	s_load_dword s19, s[6:7], 0x8c
	v_lshl_add_u32 v26, s31, 2, v25
	v_mul_hi_u32 v11, v4, s48
	v_mul_hi_u32 v7, v26, s42
	v_add_u32_e32 v11, v4, v11
	v_sub_u32_e32 v6, v1, v0
	v_add_u32_e32 v7, v26, v7
	v_mul_lo_u32 v3, v2, s46
	v_lshrrev_b32_e32 v11, s28, v11
	v_mul_lo_u32 v0, v6, s84
	v_mul_lo_u32 v1, v5, s86
	v_lshrrev_b32_e32 v7, s58, v7
	v_sub_u32_e32 v3, v24, v3
	v_mul_lo_u32 v12, v11, s44
	v_mul_lo_u32 v13, v4, s45
	v_mul_hi_u32 v8, v7, s41
	v_sub_u32_e32 v4, v4, v12
	v_sub_u32_e32 v12, v2, v13
	v_mad_u64_u32 v[16:17], s[10:11], v3, s85, v[0:1]
	s_waitcnt lgkmcnt(0)
	v_mul_lo_u32 v0, v10, s12
	v_add_u32_e32 v8, v7, v8
	v_mul_lo_u32 v2, v9, s82
	v_mad_u64_u32 v[20:21], s[10:11], v12, s13, v[0:1]
	v_mad_u64_u32 v[18:19], s[10:11], v4, s19, v[2:3]
	v_subrev_u32_e32 v0, s27, v16
	v_subrev_u32_e32 v2, s24, v20
	v_lshrrev_b32_e32 v8, s57, v8
	v_subrev_u32_e32 v3, s21, v18
	v_mul_lo_u32 v4, v11, s52
	v_mul_lo_u32 v2, v2, s54
	v_mul_lo_u32 v0, v0, s55
	v_mul_lo_u32 v11, v8, s37
	v_mul_lo_u32 v3, v3, s53
	v_add3_u32 v0, v0, v1, v2
	v_mul_lo_u32 v12, v7, s38
	v_sub_u32_e32 v36, v7, v11
	v_mul_hi_u32 v7, v8, s40
	s_mov_b32 s63, 0x20000
	v_add3_u32 v4, v0, v4, v3
	v_add_u32_e32 v7, v8, v7
	buffer_load_dwordx4 v[0:3], v4, s[60:63], 0 offen
	v_sub_u32_e32 v6, v36, v6
	v_lshrrev_b32_e32 v65, s56, v7
	v_mul_lo_u32 v17, v6, s84
	v_mul_lo_u32 v6, v65, s36
	v_sub_u32_e32 v35, v26, v12
	v_sub_u32_e32 v67, v8, v6
	;; [unrolled: 1-line block ×5, first 2 shown]
	v_mul_lo_u32 v21, v6, s82
	v_mul_lo_u32 v19, v7, s12
	;; [unrolled: 1-line block ×6, first 2 shown]
	v_add3_u32 v5, v8, v5, v6
	s_add_i32 s46, s8, s9
	v_add3_u32 v60, v5, v7, v4
	v_lshl_or_b32 v27, s46, 7, v22
	buffer_load_dwordx4 v[4:7], v60, s[60:63], 0 offen
	v_mul_lo_u32 v28, s14, v23
	v_mul_lo_u32 v42, v27, s5
	v_add_u32_e32 v12, v42, v28
	s_mov_b32 s67, s63
	buffer_load_dwordx4 v[8:11], v12, s[64:67], 0 offen
	s_lshl_b32 s13, s14, 2
	v_add_u32_e32 v12, s13, v12
	buffer_load_dwordx4 v[12:15], v12, s[64:67], 0 offen
	s_load_dword s5, s[6:7], 0x74
	s_load_dword s19, s[6:7], 0x148
	s_mul_i32 s8, s18, s51
                                        ; implicit-def: $vgpr88 : SGPR spill to VGPR lane
	v_cmp_gt_i32_e32 vcc, s87, v25
	v_writelane_b32 v88, s8, 0
	s_waitcnt lgkmcnt(0)
	s_sub_i32 s74, s26, s5
	v_cmp_gt_i32_e64 s[8:9], s4, v24
	v_cmp_le_i32_e64 s[4:5], s27, v16
	v_cmp_gt_i32_e64 s[10:11], s74, v16
	s_sub_i32 s75, s23, s25
	s_and_b64 s[4:5], s[4:5], s[10:11]
	s_and_b64 s[10:11], vcc, s[4:5]
	v_cmp_le_i32_e32 vcc, s24, v20
	v_cmp_gt_i32_e64 s[4:5], s75, v20
	s_sub_i32 s76, s20, s22
	s_and_b64 s[4:5], vcc, s[4:5]
	s_and_b64 s[10:11], s[10:11], s[4:5]
	v_cmp_le_i32_e32 vcc, s21, v18
	v_cmp_gt_i32_e64 s[4:5], s76, v18
	s_and_b64 s[4:5], vcc, s[4:5]
	s_and_b64 s[4:5], s[10:11], s[4:5]
	v_add_u32_e32 v56, v16, v17
	s_and_b64 vcc, s[8:9], s[4:5]
	v_cmp_le_i32_e64 s[4:5], s27, v56
	v_cmp_gt_i32_e64 s[10:11], s74, v56
	v_add_u32_e32 v37, v20, v19
	s_and_b64 s[4:5], s[4:5], s[10:11]
	v_add_u32_e32 v38, v18, v21
	v_add_u32_e32 v16, s13, v28
	s_mov_b32 s85, 0x3020104
	s_load_dword s43, s[6:7], 0x1dc
	s_load_dword s48, s[6:7], 0x1e8
	;; [unrolled: 1-line block ×4, first 2 shown]
	s_sub_i32 s89, s19, 32
	s_lshl_b32 s90, s14, 5
	s_mov_b64 s[28:29], src_private_base
	s_mov_b32 s69, s53
	s_mov_b32 s70, s54
	;; [unrolled: 1-line block ×6, first 2 shown]
	s_movk_i32 s28, 0x90
	s_mov_b32 s49, s29
	s_movk_i32 s25, 0x190
	s_mov_b32 s26, s29
	s_movk_i32 s20, 0x1a0
	s_mov_b32 s52, s29
	s_movk_i32 s77, 0x1b0
	s_mov_b32 s78, s29
	s_mov_b32 s79, s12
	s_lshl_b32 s91, s31, 5
	s_movk_i32 s92, 0x1c0
	s_mov_b32 s93, s29
	s_waitcnt vmcnt(3)
	v_cndmask_b32_e32 v3, 0, v3, vcc
	v_cndmask_b32_e32 v2, 0, v2, vcc
	v_cndmask_b32_e32 v1, 0, v1, vcc
	v_cndmask_b32_e32 v0, 0, v0, vcc
	v_cmp_gt_i32_e32 vcc, s87, v26
	s_and_b64 s[10:11], vcc, s[4:5]
	v_cmp_le_i32_e32 vcc, s24, v37
	v_cmp_gt_i32_e64 s[4:5], s75, v37
	s_and_b64 s[4:5], vcc, s[4:5]
	s_and_b64 s[10:11], s[10:11], s[4:5]
	v_cmp_le_i32_e32 vcc, s21, v38
	v_cmp_gt_i32_e64 s[4:5], s76, v38
	s_and_b64 s[4:5], vcc, s[4:5]
	s_and_b64 s[4:5], s[10:11], s[4:5]
	s_and_b64 vcc, s[8:9], s[4:5]
	v_cmp_gt_i32_e64 s[10:11], s15, v27
	v_perm_b32 v0, v0, v0, s85
	s_mov_b32 s94, 0
	s_mov_b32 s95, s29
	;; [unrolled: 1-line block ×3, first 2 shown]
	s_waitcnt vmcnt(2)
	v_cndmask_b32_e32 v7, 0, v7, vcc
	v_cndmask_b32_e32 v6, 0, v6, vcc
	;; [unrolled: 1-line block ×4, first 2 shown]
	v_cmp_gt_i32_e32 vcc, s88, v28
	s_and_b64 vcc, vcc, s[10:11]
	s_waitcnt vmcnt(1)
	v_cndmask_b32_e32 v11, 0, v11, vcc
	v_cndmask_b32_e32 v10, 0, v10, vcc
	;; [unrolled: 1-line block ×4, first 2 shown]
	v_cmp_gt_i32_e32 vcc, s88, v16
	v_lshlrev_b32_e32 v16, 2, v22
	v_lshl_or_b32 v34, v23, 9, v16
	ds_write2st64_b32 v34, v0, v1 offset1:2
	v_perm_b32 v0, v2, v2, s85
	ds_write2st64_b32 v34, v0, v3 offset0:4 offset1:6
	v_perm_b32 v0, v4, v4, s85
	ds_write2st64_b32 v34, v0, v5 offset0:8 offset1:10
	v_perm_b32 v0, v6, v6, s85
	s_and_b64 vcc, vcc, s[10:11]
	ds_write2st64_b32 v34, v0, v7 offset0:12 offset1:14
	v_perm_b32 v0, v8, v8, s85
	s_waitcnt vmcnt(0)
	v_cndmask_b32_e32 v12, 0, v12, vcc
	ds_write2st64_b32 v34, v0, v9 offset0:64 offset1:66
	v_perm_b32 v0, v10, v10, s85
	v_cndmask_b32_e32 v14, 0, v14, vcc
	v_cndmask_b32_e32 v13, 0, v13, vcc
	ds_write2st64_b32 v34, v0, v11 offset0:68 offset1:70
	v_perm_b32 v0, v12, v12, s85
	v_cndmask_b32_e32 v15, 0, v15, vcc
	ds_write2st64_b32 v34, v0, v13 offset0:72 offset1:74
	v_perm_b32 v0, v14, v14, s85
	ds_write2st64_b32 v34, v0, v15 offset0:76 offset1:78
	v_or_b32_e32 v0, 36, v23
	v_or_b32_e32 v1, 32, v23
	;; [unrolled: 1-line block ×4, first 2 shown]
	v_mul_lo_u32 v43, s14, v0
	v_mul_lo_u32 v44, s14, v1
	;; [unrolled: 1-line block ×4, first 2 shown]
	s_load_dwordx2 s[22:23], s[6:7], 0x220
	s_load_dwordx2 s[18:19], s[6:7], 0x210
	;; [unrolled: 1-line block ×3, first 2 shown]
	v_mul_lo_u32 v47, s31, v3
	v_mul_lo_u32 v48, s31, v2
	v_mul_lo_u32 v49, s31, v1
	v_mul_lo_u32 v50, s31, v0
	v_sub_u32_e32 v51, 0, v49
	v_mov_b32_e32 v52, v50
	v_mov_b32_e32 v53, v49
	;; [unrolled: 1-line block ×4, first 2 shown]
	s_mov_b32 s97, s29
	s_sub_i32 s98, 0, s38
	s_mov_b32 s99, 0
	s_mov_b32 s68, 0
	s_movk_i32 s32, 0x7800
.LBB11_1:                               ; =>This Inner Loop Header: Depth=1
	v_mul_hi_u32 v0, s42, v55
	v_add_u32_e32 v2, s73, v47
	v_add_u32_e32 v0, v2, v0
	v_lshrrev_b32_e32 v0, s58, v0
	v_mul_hi_u32 v4, v0, s41
	v_add_u32_e32 v4, v0, v4
	v_lshrrev_b32_e32 v9, s57, v4
	v_mul_lo_u32 v4, v9, s37
	v_mul_lo_u32 v3, s98, v0
	v_sub_u32_e32 v10, v0, v4
	v_add_u32_e32 v8, v2, v3
	v_sub_u32_e32 v3, v3, v35
	v_sub_u32_e32 v0, v10, v36
	v_add_u32_e32 v3, v2, v3
	v_mul_lo_u32 v0, v0, s84
	v_add_u32_e32 v12, v0, v56
	v_mul_lo_u32 v0, v0, s55
	v_mul_lo_u32 v3, v3, s86
	v_mul_hi_u32 v1, s42, v54
	v_add3_u32 v13, v3, v60, v0
	v_add_u32_e32 v0, s73, v48
	v_cmp_le_i32_e64 s[4:5], s27, v12
	v_cmp_gt_i32_e64 s[12:13], s74, v12
	v_add_u32_e32 v1, v0, v1
	v_mul_hi_u32 v4, v9, s40
	v_cmp_gt_i32_e32 vcc, s87, v2
	s_and_b64 s[4:5], s[4:5], s[12:13]
	v_lshrrev_b32_e32 v1, s58, v1
	v_add_u32_e32 v11, v9, v4
	s_and_b64 s[44:45], vcc, s[4:5]
	v_mad_u64_u32 v[4:5], s[4:5], s98, v1, v[0:1]
	v_mul_hi_u32 v5, v1, s41
	v_add_u32_e32 v5, v1, v5
	v_lshrrev_b32_e32 v5, s57, v5
	v_sub_u32_e32 v2, v4, v8
	v_mul_lo_u32 v8, v5, s37
	v_sub_u32_e32 v8, v1, v8
	v_sub_u32_e32 v1, v8, v10
	v_mul_lo_u32 v1, v1, s84
	v_add_u32_e32 v12, v1, v12
	v_cmp_le_i32_e64 s[4:5], s27, v12
	v_cmp_gt_i32_e64 s[12:13], s74, v12
	v_add_u32_e32 v3, s99, v46
	v_add_u32_e32 v14, v46, v42
	v_cmp_gt_i32_e32 vcc, s87, v0
	s_and_b64 s[4:5], s[4:5], s[12:13]
	v_mul_lo_u32 v15, v1, s55
	v_mul_lo_u32 v16, v2, s86
	s_and_b64 s[30:31], vcc, s[4:5]
	v_cmp_gt_i32_e32 vcc, s88, v3
	buffer_load_dwordx4 v[0:3], v14, s[64:67], 0 offen
	s_and_b64 vcc, s[10:11], vcc
	v_mul_hi_u32 v6, s42, v53
	v_mul_hi_u32 v7, s42, v52
	v_add_u32_e32 v59, s73, v50
	v_mul_hi_u32 v10, v5, s40
	v_add_u32_e32 v10, v5, v10
	v_add_u32_e32 v58, s99, v44
	;; [unrolled: 1-line block ×3, first 2 shown]
	s_waitcnt vmcnt(0)
	v_cndmask_b32_e32 v63, 0, v1, vcc
	v_cndmask_b32_e32 v17, 0, v0, vcc
	v_add_u32_e32 v0, s99, v45
	v_add_u32_e32 v1, v45, v42
	v_cndmask_b32_e32 v62, 0, v3, vcc
	v_cndmask_b32_e32 v14, 0, v2, vcc
	v_cmp_gt_i32_e32 vcc, s88, v0
	buffer_load_dwordx4 v[0:3], v1, s[64:67], 0 offen
	s_and_b64 vcc, s[10:11], vcc
	v_perm_b32 v76, v14, v14, s85
	v_perm_b32 v77, v17, v17, s85
	s_waitcnt vmcnt(0)
	v_cndmask_b32_e32 v0, 0, v0, vcc
	v_cndmask_b32_e32 v73, 0, v1, vcc
	;; [unrolled: 1-line block ×3, first 2 shown]
	v_perm_b32 v75, v0, v0, s85
	v_add_u32_e32 v0, s73, v49
	v_perm_b32 v74, v1, v1, s85
	v_add_u32_e32 v1, v0, v6
	v_lshrrev_b32_e32 v1, s58, v1
	v_cndmask_b32_e32 v72, 0, v3, vcc
	v_mad_u64_u32 v[2:3], s[4:5], s98, v1, v[0:1]
	v_mul_hi_u32 v3, v1, s41
	v_cmp_gt_i32_e32 vcc, s87, v0
	v_add_u32_e32 v0, v59, v7
	v_sub_u32_e32 v2, v2, v4
	v_add_u32_e32 v3, v1, v3
	v_lshrrev_b32_e32 v0, s58, v0
	v_lshrrev_b32_e32 v69, s57, v3
	v_mul_lo_u32 v70, v2, s86
	v_mul_hi_u32 v2, v0, s41
	v_mul_lo_u32 v3, v69, s37
	v_add_u32_e32 v2, v0, v2
	v_mul_lo_u32 v6, v1, s38
	v_sub_u32_e32 v1, v1, v3
	v_lshrrev_b32_e32 v64, s57, v2
	v_sub_u32_e32 v3, v1, v8
	v_mul_lo_u32 v2, v64, s71
	v_mul_hi_u32 v4, v69, s40
	v_mul_lo_u32 v3, v3, s84
	v_sub_u32_e32 v36, v0, v2
	v_add_u32_e32 v71, v69, v4
	v_add_u32_e32 v4, v3, v12
	v_mul_lo_u32 v68, v3, s55
	v_mul_lo_u32 v3, v0, s72
	v_sub_u32_e32 v0, v36, v1
	v_mul_lo_u32 v61, v0, s84
	v_cmp_le_i32_e64 s[4:5], s27, v4
	v_cmp_gt_i32_e64 s[12:13], s74, v4
	v_add_u32_e32 v56, v61, v4
	v_lshrrev_b32_e32 v4, s56, v11
	v_sub_u32_e32 v35, v59, v3
	v_mul_lo_u32 v0, v4, s36
	v_add3_u32 v60, v35, v6, v51
	v_mul_hi_u32 v1, v64, s40
	v_sub_u32_e32 v6, v9, v0
	v_add_u32_e32 v66, v64, v1
	v_sub_u32_e32 v0, v4, v65
	v_sub_u32_e32 v1, v6, v67
	v_mul_lo_u32 v1, v1, s79
	v_mul_lo_u32 v0, v0, s82
	v_add_u32_e32 v7, v0, v38
	v_add_u32_e32 v8, v1, v37
	v_mul_lo_u32 v0, v0, s53
	v_mul_lo_u32 v1, v1, s54
	v_add3_u32 v9, v13, v0, v1
	buffer_load_dwordx4 v[0:3], v9, s[60:63], 0 offen
	s_and_b64 s[4:5], s[4:5], s[12:13]
	s_and_b64 s[12:13], vcc, s[4:5]
	v_cmp_le_i32_e32 vcc, s24, v8
	v_cmp_gt_i32_e64 s[4:5], s75, v8
	s_and_b64 s[4:5], vcc, s[4:5]
	s_and_b64 s[44:45], s[44:45], s[4:5]
	v_cmp_le_i32_e32 vcc, s21, v7
	v_cmp_gt_i32_e64 s[4:5], s76, v7
	s_and_b64 s[4:5], vcc, s[4:5]
	s_and_b64 s[4:5], s[4:5], s[44:45]
	s_and_b64 vcc, s[8:9], s[4:5]
	v_lshrrev_b32_e32 v67, s56, v10
	s_waitcnt vmcnt(0)
	v_cndmask_b32_e32 v86, 0, v0, vcc
	v_mul_lo_u32 v0, v67, s36
	v_sub_u32_e32 v78, v5, v0
	v_sub_u32_e32 v0, v67, v4
	v_cndmask_b32_e32 v65, 0, v1, vcc
	v_sub_u32_e32 v1, v78, v6
	v_mul_lo_u32 v0, v0, s82
	v_mul_lo_u32 v1, v1, s79
	v_add_u32_e32 v79, v0, v7
	v_mul_lo_u32 v0, v0, s53
	v_add_u32_e32 v80, v1, v8
	v_mul_lo_u32 v1, v1, s54
	v_add3_u32 v0, v15, v16, v0
	v_add3_u32 v81, v0, v9, v1
	v_cndmask_b32_e32 v37, 0, v3, vcc
	v_cndmask_b32_e32 v38, 0, v2, vcc
	buffer_load_dwordx4 v[0:3], v81, s[60:63], 0 offen
	v_cmp_le_i32_e32 vcc, s24, v80
	v_cmp_gt_i32_e64 s[4:5], s75, v80
	s_and_b64 s[4:5], vcc, s[4:5]
	s_and_b64 s[30:31], s[30:31], s[4:5]
	v_cmp_le_i32_e32 vcc, s21, v79
	v_cmp_gt_i32_e64 s[4:5], s76, v79
	s_and_b64 s[4:5], vcc, s[4:5]
	s_and_b64 s[4:5], s[4:5], s[30:31]
	s_and_b64 vcc, s[8:9], s[4:5]
	s_waitcnt lgkmcnt(0)
	s_barrier
	buffer_store_dword v41, off, s[0:3], 0
	buffer_store_dword v41, off, s[0:3], 0 offset:4
	buffer_store_dword v41, off, s[0:3], 0 offset:8
	;; [unrolled: 1-line block ×15, first 2 shown]
	s_getpc_b64 s[44:45]
	s_add_u32 s44, s44, _ZNK2ck6detail15static_for_implINS_8SequenceIJLi1ELi2ELi3ELi4ELi5ELi6ELi7ELi8ELi9ELi10ELi11ELi12ELi13ELi14ELi15EEEEEclIZNKS_80BlockwiseGemmDl_A_BK0_BM_BK1_B_BK0_BN_BK1_C_BM0_BM1_BN0_BN1_pipeline_BM0_2_BN0_2ILi256EaaiKNS_16TensorDescriptorINS_5TupleIJNS_5EmbedINS8_IJNS_17integral_constantIiLi16EEENSA_IiLi128EEENSA_IiLi4EEEEEENS8_IJNSA_IiLi512EEESD_NSA_IiLi1EEEEEELb0EEEEEENS8_IJNS2_IJLi0EEEEEEENS8_IJNS2_IJLi1ELi2ELi3EEEEEEESM_NSA_IlLl8192EEEEESQ_Li4ELi4ELi1ENS2_IJLi8ELi2EEEESR_Li4ELi4ELb0EE3RunINS7_INS8_IJNS_7UnMergeINS8_IJNSA_IiLi2EEESD_SV_SD_EEELb0EEEEEESL_NS8_IJNS2_IJLi1ELi2ELi3ELi4EEEEEEESZ_NSA_IlLl64EEEEENS_13DynamicBufferILNS_16AddressSpaceEnumE2EaSO_Lb1ELNS_22AmdBufferCoherenceEnumE0EiEES16_NS_12StaticBufferILS14_4EiLi64ELb1EEEEEvRKT_RKT0_RKT1_RT2_EUlS19_E_EEvS19_@rel32@lo+4
	s_addc_u32 s45, s45, _ZNK2ck6detail15static_for_implINS_8SequenceIJLi1ELi2ELi3ELi4ELi5ELi6ELi7ELi8ELi9ELi10ELi11ELi12ELi13ELi14ELi15EEEEEclIZNKS_80BlockwiseGemmDl_A_BK0_BM_BK1_B_BK0_BN_BK1_C_BM0_BM1_BN0_BN1_pipeline_BM0_2_BN0_2ILi256EaaiKNS_16TensorDescriptorINS_5TupleIJNS_5EmbedINS8_IJNS_17integral_constantIiLi16EEENSA_IiLi128EEENSA_IiLi4EEEEEENS8_IJNSA_IiLi512EEESD_NSA_IiLi1EEEEEELb0EEEEEENS8_IJNS2_IJLi0EEEEEEENS8_IJNS2_IJLi1ELi2ELi3EEEEEEESM_NSA_IlLl8192EEEEESQ_Li4ELi4ELi1ENS2_IJLi8ELi2EEEESR_Li4ELi4ELb0EE3RunINS7_INS8_IJNS_7UnMergeINS8_IJNSA_IiLi2EEESD_SV_SD_EEELb0EEEEEESL_NS8_IJNS2_IJLi1ELi2ELi3ELi4EEEEEEESZ_NSA_IlLl64EEEEENS_13DynamicBufferILNS_16AddressSpaceEnumE2EaSO_Lb1ELNS_22AmdBufferCoherenceEnumE0EiEES16_NS_12StaticBufferILS14_4EiLi64ELb1EEEEEvRKT_RKT0_RKT1_RT2_EUlS19_E_EEvS19_@rel32@hi+12
	s_waitcnt vmcnt(16)
	v_cndmask_b32_e32 v85, 0, v0, vcc
	buffer_load_dword v0, off, s[0:3], 0 offset:80
	v_cndmask_b32_e32 v82, 0, v3, vcc
	v_cndmask_b32_e32 v83, 0, v2, vcc
	buffer_load_dword v2, off, s[0:3], 0 offset:400
	buffer_load_dword v3, off, s[0:3], 0 offset:404
	v_cndmask_b32_e32 v84, 0, v1, vcc
	s_waitcnt vmcnt(2)
	v_ashrrev_i32_e32 v1, 31, v0
	s_waitcnt vmcnt(1)
	v_add_co_u32_e32 v12, vcc, v2, v0
	s_waitcnt vmcnt(0)
	v_addc_co_u32_e32 v13, vcc, v3, v1, vcc
	flat_load_dwordx4 v[0:3], v[12:13]
	s_waitcnt vmcnt(0) lgkmcnt(0)
	buffer_store_dword v0, off, s[0:3], 0
	buffer_store_dword v1, off, s[0:3], 0 offset:4
	buffer_store_dword v2, off, s[0:3], 0 offset:8
	;; [unrolled: 1-line block ×3, first 2 shown]
	buffer_load_dword v4, off, s[0:3], 0 offset:112
	buffer_load_dword v6, off, s[0:3], 0 offset:416
	;; [unrolled: 1-line block ×3, first 2 shown]
	s_waitcnt vmcnt(2)
	v_ashrrev_i32_e32 v5, 31, v4
	s_waitcnt vmcnt(1)
	v_add_co_u32_e32 v8, vcc, v6, v4
	s_waitcnt vmcnt(0)
	v_addc_co_u32_e32 v9, vcc, v7, v5, vcc
	flat_load_dwordx4 v[4:7], v[8:9]
	s_waitcnt vmcnt(0) lgkmcnt(0)
	buffer_store_dword v4, off, s[0:3], 0 offset:32
	buffer_store_dword v5, off, s[0:3], 0 offset:36
	;; [unrolled: 1-line block ×4, first 2 shown]
	flat_load_dwordx4 v[8:11], v[8:9] offset:256
	s_waitcnt vmcnt(0) lgkmcnt(0)
	buffer_store_dword v8, off, s[0:3], 0 offset:48
	buffer_store_dword v9, off, s[0:3], 0 offset:52
	;; [unrolled: 1-line block ×4, first 2 shown]
	flat_load_dwordx4 v[12:15], v[12:13] offset:256
	s_waitcnt vmcnt(0) lgkmcnt(0)
	buffer_store_dword v12, off, s[0:3], 0 offset:16
	buffer_store_dword v13, off, s[0:3], 0 offset:20
	;; [unrolled: 1-line block ×4, first 2 shown]
	buffer_load_dword v12, off, s[0:3], 0 offset:144
	s_waitcnt vmcnt(0)
	v_dot4c_i32_i8_e32 v12, v0, v4
	s_nop 2
	buffer_store_dword v12, off, s[0:3], 0 offset:144
	buffer_load_dword v12, off, s[0:3], 0 offset:148
	s_waitcnt vmcnt(0)
	v_dot4c_i32_i8_e32 v12, v0, v5
	s_nop 2
	buffer_store_dword v12, off, s[0:3], 0 offset:148
	;; [unrolled: 5-line block ×12, first 2 shown]
	buffer_load_dword v12, off, s[0:3], 0 offset:240
	s_waitcnt vmcnt(0)
	v_dot4c_i32_i8_e32 v12, v3, v4
	buffer_load_dword v4, off, s[0:3], 0 offset:244
	s_waitcnt vmcnt(0)
	v_dot4c_i32_i8_e32 v4, v3, v5
	s_nop 2
	buffer_store_dword v4, off, s[0:3], 0 offset:244
	buffer_load_dword v4, off, s[0:3], 0 offset:248
	v_mov_b32_e32 v5, s95
	buffer_store_dword v12, off, s[0:3], 0 offset:240
	s_waitcnt vmcnt(1)
	v_dot4c_i32_i8_e32 v4, v3, v6
	s_nop 2
	buffer_store_dword v4, off, s[0:3], 0 offset:248
	buffer_load_dword v4, off, s[0:3], 0 offset:252
	v_mov_b32_e32 v6, s96
	s_waitcnt vmcnt(0)
	v_dot4c_i32_i8_e32 v4, v3, v7
	s_nop 2
	buffer_store_dword v4, off, s[0:3], 0 offset:252
	buffer_load_dword v4, off, s[0:3], 0 offset:160
	v_mov_b32_e32 v7, s97
	s_waitcnt vmcnt(0)
	v_dot4c_i32_i8_e32 v4, v0, v8
	s_nop 2
	buffer_store_dword v4, off, s[0:3], 0 offset:160
	buffer_load_dword v4, off, s[0:3], 0 offset:164
	s_waitcnt vmcnt(0)
	v_dot4c_i32_i8_e32 v4, v0, v9
	s_nop 2
	buffer_store_dword v4, off, s[0:3], 0 offset:164
	buffer_load_dword v4, off, s[0:3], 0 offset:168
	;; [unrolled: 5-line block ×3, first 2 shown]
	s_waitcnt vmcnt(0)
	v_dot4c_i32_i8_e32 v4, v0, v11
	buffer_load_dword v0, off, s[0:3], 0 offset:192
	s_waitcnt vmcnt(0)
	v_dot4c_i32_i8_e32 v0, v1, v8
	s_nop 2
	buffer_store_dword v0, off, s[0:3], 0 offset:192
	buffer_load_dword v0, off, s[0:3], 0 offset:196
	s_waitcnt vmcnt(0)
	v_dot4c_i32_i8_e32 v0, v1, v9
	s_nop 2
	buffer_store_dword v0, off, s[0:3], 0 offset:196
	;; [unrolled: 5-line block ×4, first 2 shown]
	buffer_load_dword v0, off, s[0:3], 0 offset:224
	v_mov_b32_e32 v1, s29
	buffer_store_dword v4, off, s[0:3], 0 offset:172
	v_mov_b32_e32 v4, s94
	s_waitcnt vmcnt(1)
	v_dot4c_i32_i8_e32 v0, v2, v8
	s_nop 2
	buffer_store_dword v0, off, s[0:3], 0 offset:224
	buffer_load_dword v0, off, s[0:3], 0 offset:228
	s_waitcnt vmcnt(0)
	v_dot4c_i32_i8_e32 v0, v2, v9
	s_nop 2
	buffer_store_dword v0, off, s[0:3], 0 offset:228
	buffer_load_dword v0, off, s[0:3], 0 offset:232
	;; [unrolled: 5-line block ×4, first 2 shown]
	v_mov_b32_e32 v2, s25
	s_waitcnt vmcnt(0)
	v_dot4c_i32_i8_e32 v0, v3, v8
	s_nop 2
	buffer_store_dword v0, off, s[0:3], 0 offset:256
	buffer_load_dword v0, off, s[0:3], 0 offset:260
	v_mov_b32_e32 v8, s28
	s_waitcnt vmcnt(0)
	v_dot4c_i32_i8_e32 v0, v3, v9
	s_nop 2
	buffer_store_dword v0, off, s[0:3], 0 offset:260
	buffer_load_dword v0, off, s[0:3], 0 offset:264
	;; [unrolled: 6-line block ×3, first 2 shown]
	v_mov_b32_e32 v10, s20
	s_waitcnt vmcnt(0)
	v_dot4c_i32_i8_e32 v0, v3, v11
	s_nop 2
	buffer_store_dword v0, off, s[0:3], 0 offset:268
	v_mov_b32_e32 v0, s50
	v_mov_b32_e32 v3, s26
	v_mov_b32_e32 v11, s52
	s_swappc_b64 s[30:31], s[44:45]
	buffer_load_dword v0, off, s[0:3], 0 offset:32
	buffer_load_dword v1, off, s[0:3], 0 offset:36
	;; [unrolled: 1-line block ×12, first 2 shown]
	s_waitcnt vmcnt(5)
	v_dot4c_i32_i8_e32 v6, v4, v0
	s_nop 2
	buffer_store_dword v6, off, s[0:3], 0 offset:272
	buffer_load_dword v6, off, s[0:3], 0 offset:312
	s_waitcnt vmcnt(6)
	v_dot4c_i32_i8_e32 v7, v4, v1
	s_waitcnt vmcnt(5)
	v_dot4c_i32_i8_e32 v8, v4, v2
	;; [unrolled: 2-line block ×5, first 2 shown]
	buffer_store_dword v7, off, s[0:3], 0 offset:276
	buffer_store_dword v8, off, s[0:3], 0 offset:280
	;; [unrolled: 1-line block ×5, first 2 shown]
	s_waitcnt vmcnt(5)
	v_dot4c_i32_i8_e32 v6, v5, v2
	s_nop 2
	buffer_store_dword v6, off, s[0:3], 0 offset:312
	buffer_load_dword v6, off, s[0:3], 0 offset:316
	s_waitcnt vmcnt(0)
	v_dot4c_i32_i8_e32 v6, v5, v3
	s_nop 2
	buffer_store_dword v6, off, s[0:3], 0 offset:316
	buffer_load_dword v6, off, s[0:3], 0 offset:24
	s_nop 0
	buffer_load_dword v7, off, s[0:3], 0 offset:336
	s_waitcnt vmcnt(0)
	v_dot4c_i32_i8_e32 v7, v6, v0
	s_nop 2
	buffer_store_dword v7, off, s[0:3], 0 offset:336
	buffer_load_dword v7, off, s[0:3], 0 offset:340
	s_waitcnt vmcnt(0)
	v_dot4c_i32_i8_e32 v7, v6, v1
	s_nop 2
	buffer_store_dword v7, off, s[0:3], 0 offset:340
	;; [unrolled: 5-line block ×4, first 2 shown]
	buffer_load_dword v7, off, s[0:3], 0 offset:28
	s_nop 0
	buffer_load_dword v8, off, s[0:3], 0 offset:368
	s_waitcnt vmcnt(0)
	v_dot4c_i32_i8_e32 v8, v7, v0
	buffer_load_dword v0, off, s[0:3], 0 offset:372
	s_waitcnt vmcnt(0)
	v_dot4c_i32_i8_e32 v0, v7, v1
	s_nop 2
	buffer_store_dword v0, off, s[0:3], 0 offset:372
	buffer_load_dword v0, off, s[0:3], 0 offset:376
	s_waitcnt vmcnt(0)
	v_dot4c_i32_i8_e32 v0, v7, v2
	s_nop 2
	buffer_store_dword v0, off, s[0:3], 0 offset:376
	buffer_load_dword v0, off, s[0:3], 0 offset:380
	s_waitcnt vmcnt(0)
	v_dot4c_i32_i8_e32 v0, v7, v3
	buffer_store_dword v8, off, s[0:3], 0 offset:368
	s_nop 1
	buffer_store_dword v0, off, s[0:3], 0 offset:380
	buffer_load_dword v0, off, s[0:3], 0 offset:48
	s_nop 0
	buffer_load_dword v1, off, s[0:3], 0 offset:288
	s_waitcnt vmcnt(0)
	v_dot4c_i32_i8_e32 v1, v4, v0
	s_nop 2
	buffer_store_dword v1, off, s[0:3], 0 offset:288
	buffer_load_dword v1, off, s[0:3], 0 offset:52
	s_nop 0
	buffer_load_dword v2, off, s[0:3], 0 offset:292
	s_waitcnt vmcnt(0)
	v_dot4c_i32_i8_e32 v2, v4, v1
	;; [unrolled: 7-line block ×4, first 2 shown]
	buffer_load_dword v4, off, s[0:3], 0 offset:320
	s_waitcnt vmcnt(0)
	v_dot4c_i32_i8_e32 v4, v5, v0
	s_nop 2
	buffer_store_dword v4, off, s[0:3], 0 offset:320
	buffer_load_dword v4, off, s[0:3], 0 offset:324
	s_waitcnt vmcnt(0)
	v_dot4c_i32_i8_e32 v4, v5, v1
	s_nop 2
	buffer_store_dword v4, off, s[0:3], 0 offset:324
	buffer_load_dword v4, off, s[0:3], 0 offset:328
	s_waitcnt vmcnt(0)
	v_dot4c_i32_i8_e32 v4, v5, v2
	s_nop 2
	buffer_store_dword v4, off, s[0:3], 0 offset:328
	buffer_load_dword v4, off, s[0:3], 0 offset:332
	s_waitcnt vmcnt(0)
	v_dot4c_i32_i8_e32 v4, v5, v3
	s_nop 2
	buffer_store_dword v4, off, s[0:3], 0 offset:332
	buffer_load_dword v4, off, s[0:3], 0 offset:352
	s_waitcnt vmcnt(0)
	v_dot4c_i32_i8_e32 v4, v6, v0
	s_nop 2
	buffer_store_dword v4, off, s[0:3], 0 offset:352
	buffer_load_dword v4, off, s[0:3], 0 offset:356
	s_waitcnt vmcnt(0)
	v_dot4c_i32_i8_e32 v4, v6, v1
	s_nop 2
	buffer_store_dword v4, off, s[0:3], 0 offset:356
	buffer_load_dword v4, off, s[0:3], 0 offset:360
	s_waitcnt vmcnt(0)
	v_dot4c_i32_i8_e32 v4, v6, v2
	s_nop 2
	buffer_store_dword v4, off, s[0:3], 0 offset:360
	buffer_load_dword v4, off, s[0:3], 0 offset:364
	s_waitcnt vmcnt(0)
	v_dot4c_i32_i8_e32 v4, v6, v3
	s_nop 2
	buffer_store_dword v4, off, s[0:3], 0 offset:364
	buffer_load_dword v4, off, s[0:3], 0 offset:384
	s_waitcnt vmcnt(0)
	v_dot4c_i32_i8_e32 v4, v7, v0
	buffer_load_dword v0, off, s[0:3], 0 offset:388
	s_waitcnt vmcnt(0)
	v_dot4c_i32_i8_e32 v0, v7, v1
	s_nop 2
	buffer_store_dword v0, off, s[0:3], 0 offset:388
	buffer_load_dword v0, off, s[0:3], 0 offset:392
	v_perm_b32 v1, v86, v86, s85
	buffer_store_dword v8, off, s[0:3], 0 offset:300
	buffer_store_dword v4, off, s[0:3], 0 offset:384
	s_waitcnt vmcnt(2)
	v_dot4c_i32_i8_e32 v0, v7, v2
	s_nop 2
	buffer_store_dword v0, off, s[0:3], 0 offset:392
	buffer_load_dword v0, off, s[0:3], 0 offset:396
	s_waitcnt vmcnt(0)
	v_dot4c_i32_i8_e32 v0, v7, v3
	s_nop 2
	buffer_store_dword v0, off, s[0:3], 0 offset:396
	buffer_load_dword v0, off, s[0:3], 0 offset:432
	s_nop 0
	buffer_load_dword v6, off, s[0:3], 0 offset:436
	s_waitcnt vmcnt(1)
	v_add_co_u32_e32 v2, vcc, v0, v34
	s_waitcnt vmcnt(0)
	v_addc_co_u32_e32 v3, vcc, 0, v6, vcc
	flat_store_dword v[2:3], v1
	flat_store_dword v[2:3], v65 offset:512
	v_perm_b32 v1, v38, v38, s85
	flat_store_dword v[2:3], v1 offset:1024
	flat_store_dword v[2:3], v37 offset:1536
	v_perm_b32 v1, v85, v85, s85
	flat_store_dword v[2:3], v1 offset:2048
	;; [unrolled: 3-line block ×3, first 2 shown]
	flat_store_dword v[2:3], v82 offset:3584
	buffer_load_dword v7, off, s[0:3], 0 offset:448
	buffer_load_dword v8, off, s[0:3], 0 offset:452
	v_lshrrev_b32_e32 v1, s56, v71
	v_lshrrev_b32_e32 v65, s56, v66
	s_waitcnt vmcnt(0)
	v_add_co_u32_e32 v2, vcc, v7, v34
	v_addc_co_u32_e32 v3, vcc, 0, v8, vcc
	flat_store_dword v[2:3], v77
	flat_store_dword v[2:3], v63 offset:512
	flat_store_dword v[2:3], v76 offset:1024
	;; [unrolled: 1-line block ×7, first 2 shown]
	v_mul_lo_u32 v2, v1, s36
	v_sub_u32_e32 v9, v69, v2
	v_sub_u32_e32 v2, v1, v67
	;; [unrolled: 1-line block ×3, first 2 shown]
	v_mul_lo_u32 v2, v2, s82
	v_mul_lo_u32 v3, v3, s79
	v_add_u32_e32 v10, v2, v79
	v_mul_lo_u32 v2, v2, s53
	v_add_u32_e32 v11, v3, v80
	v_mul_lo_u32 v3, v3, s54
	v_add3_u32 v2, v68, v70, v2
	v_add3_u32 v12, v2, v3, v81
	buffer_load_dwordx4 v[2:5], v12, s[60:63], 0 offen
	v_cmp_le_i32_e32 vcc, s24, v11
	v_cmp_gt_i32_e64 s[4:5], s75, v11
	s_and_b64 s[4:5], vcc, s[4:5]
	s_and_b64 s[12:13], s[12:13], s[4:5]
	v_cmp_le_i32_e32 vcc, s21, v10
	v_cmp_gt_i32_e64 s[4:5], s76, v10
	s_and_b64 s[4:5], vcc, s[4:5]
	s_and_b64 s[4:5], s[4:5], s[12:13]
	s_and_b64 vcc, s[8:9], s[4:5]
	v_sub_u32_e32 v1, v65, v1
	v_mul_lo_u32 v1, v1, s82
	v_add_u32_e32 v38, v1, v10
	v_mul_lo_u32 v1, v1, s69
	v_cmp_le_i32_e64 s[4:5], s27, v56
	v_cmp_gt_i32_e64 s[12:13], s74, v56
	s_and_b64 s[4:5], s[4:5], s[12:13]
	s_waitcnt vmcnt(0)
	v_cndmask_b32_e32 v69, 0, v2, vcc
	v_mul_lo_u32 v2, v65, s36
	v_sub_u32_e32 v67, v64, v2
	v_sub_u32_e32 v2, v67, v9
	v_cndmask_b32_e32 v63, 0, v4, vcc
	v_cndmask_b32_e32 v68, 0, v3, vcc
	v_mul_lo_u32 v2, v2, s79
	v_mul_lo_u32 v3, v61, s55
	;; [unrolled: 1-line block ×3, first 2 shown]
	v_add_u32_e32 v37, v2, v11
	v_mul_lo_u32 v2, v2, s70
	v_add3_u32 v1, v3, v4, v1
	v_add3_u32 v60, v1, v2, v12
	v_cndmask_b32_e32 v62, 0, v5, vcc
	buffer_load_dwordx4 v[2:5], v60, s[60:63], 0 offen
	v_cmp_gt_i32_e32 vcc, s87, v59
	s_and_b64 s[12:13], vcc, s[4:5]
	v_cmp_le_i32_e32 vcc, s24, v37
	v_cmp_gt_i32_e64 s[4:5], s75, v37
	s_and_b64 s[4:5], vcc, s[4:5]
	s_and_b64 s[12:13], s[12:13], s[4:5]
	v_cmp_le_i32_e32 vcc, s21, v38
	v_cmp_gt_i32_e64 s[4:5], s76, v38
	s_and_b64 s[4:5], vcc, s[4:5]
	s_and_b64 s[4:5], s[4:5], s[12:13]
	s_and_b64 vcc, s[8:9], s[4:5]
	v_add_u32_e32 v1, s99, v43
	s_waitcnt vmcnt(0)
	v_cndmask_b32_e32 v59, 0, v5, vcc
	v_cndmask_b32_e32 v61, 0, v4, vcc
	v_cndmask_b32_e32 v66, 0, v3, vcc
	v_cndmask_b32_e32 v71, 0, v2, vcc
	buffer_load_dwordx4 v[2:5], v57, s[64:67], 0 offen
	v_cmp_gt_i32_e32 vcc, s88, v58
	s_and_b64 vcc, s[10:11], vcc
	s_waitcnt vmcnt(0)
	v_cndmask_b32_e32 v73, 0, v2, vcc
	v_add_u32_e32 v2, v43, v42
	v_cndmask_b32_e32 v57, 0, v5, vcc
	v_cndmask_b32_e32 v64, 0, v4, vcc
	;; [unrolled: 1-line block ×3, first 2 shown]
	buffer_load_dwordx4 v[2:5], v2, s[64:67], 0 offen
	s_waitcnt lgkmcnt(0)
	s_barrier
	buffer_store_dword v41, off, s[0:3], 0
	buffer_store_dword v41, off, s[0:3], 0 offset:4
	buffer_store_dword v41, off, s[0:3], 0 offset:8
	;; [unrolled: 1-line block ×15, first 2 shown]
	v_cmp_gt_i32_e32 vcc, s88, v1
	buffer_load_dword v1, off, s[0:3], 0 offset:80
	s_and_b64 vcc, s[10:11], vcc
	s_waitcnt vmcnt(17)
	v_cndmask_b32_e32 v70, 0, v5, vcc
	v_cndmask_b32_e32 v74, 0, v4, vcc
	;; [unrolled: 1-line block ×4, first 2 shown]
	s_waitcnt vmcnt(0)
	v_ashrrev_i32_e32 v2, 31, v1
	v_add_co_u32_e32 v12, vcc, v0, v1
	v_addc_co_u32_e32 v13, vcc, v6, v2, vcc
	flat_load_dwordx4 v[0:3], v[12:13]
	s_waitcnt vmcnt(0) lgkmcnt(0)
	buffer_store_dword v0, off, s[0:3], 0
	buffer_store_dword v1, off, s[0:3], 0 offset:4
	buffer_store_dword v2, off, s[0:3], 0 offset:8
	buffer_store_dword v3, off, s[0:3], 0 offset:12
	buffer_load_dword v4, off, s[0:3], 0 offset:112
	s_waitcnt vmcnt(0)
	v_ashrrev_i32_e32 v5, 31, v4
	v_add_co_u32_e32 v4, vcc, v7, v4
	v_addc_co_u32_e32 v5, vcc, v8, v5, vcc
	flat_load_dwordx4 v[8:11], v[4:5]
	s_waitcnt vmcnt(0) lgkmcnt(0)
	buffer_store_dword v8, off, s[0:3], 0 offset:32
	buffer_store_dword v9, off, s[0:3], 0 offset:36
	;; [unrolled: 1-line block ×4, first 2 shown]
	flat_load_dwordx4 v[4:7], v[4:5] offset:256
	s_waitcnt vmcnt(0) lgkmcnt(0)
	buffer_store_dword v4, off, s[0:3], 0 offset:48
	buffer_store_dword v5, off, s[0:3], 0 offset:52
	;; [unrolled: 1-line block ×4, first 2 shown]
	flat_load_dwordx4 v[12:15], v[12:13] offset:256
	s_waitcnt vmcnt(0) lgkmcnt(0)
	buffer_store_dword v12, off, s[0:3], 0 offset:16
	buffer_store_dword v13, off, s[0:3], 0 offset:20
	;; [unrolled: 1-line block ×4, first 2 shown]
	buffer_load_dword v12, off, s[0:3], 0 offset:144
	s_waitcnt vmcnt(0)
	v_dot4c_i32_i8_e32 v12, v0, v8
	s_nop 2
	buffer_store_dword v12, off, s[0:3], 0 offset:144
	buffer_load_dword v12, off, s[0:3], 0 offset:148
	s_waitcnt vmcnt(0)
	v_dot4c_i32_i8_e32 v12, v0, v9
	s_nop 2
	buffer_store_dword v12, off, s[0:3], 0 offset:148
	;; [unrolled: 5-line block ×12, first 2 shown]
	buffer_load_dword v12, off, s[0:3], 0 offset:240
	s_waitcnt vmcnt(0)
	v_dot4c_i32_i8_e32 v12, v3, v8
	buffer_load_dword v8, off, s[0:3], 0 offset:244
	s_waitcnt vmcnt(0)
	v_dot4c_i32_i8_e32 v8, v3, v9
	s_nop 2
	buffer_store_dword v8, off, s[0:3], 0 offset:244
	buffer_load_dword v8, off, s[0:3], 0 offset:248
	v_mov_b32_e32 v9, s49
	buffer_store_dword v12, off, s[0:3], 0 offset:240
	s_waitcnt vmcnt(1)
	v_dot4c_i32_i8_e32 v8, v3, v10
	s_nop 2
	buffer_store_dword v8, off, s[0:3], 0 offset:248
	buffer_load_dword v8, off, s[0:3], 0 offset:252
	v_mov_b32_e32 v10, s92
	s_waitcnt vmcnt(0)
	v_dot4c_i32_i8_e32 v8, v3, v11
	s_nop 2
	buffer_store_dword v8, off, s[0:3], 0 offset:252
	buffer_load_dword v8, off, s[0:3], 0 offset:160
	v_mov_b32_e32 v11, s93
	s_waitcnt vmcnt(0)
	v_dot4c_i32_i8_e32 v8, v0, v4
	s_nop 2
	buffer_store_dword v8, off, s[0:3], 0 offset:160
	buffer_load_dword v8, off, s[0:3], 0 offset:164
	s_waitcnt vmcnt(0)
	v_dot4c_i32_i8_e32 v8, v0, v5
	s_nop 2
	buffer_store_dword v8, off, s[0:3], 0 offset:164
	buffer_load_dword v8, off, s[0:3], 0 offset:168
	;; [unrolled: 5-line block ×3, first 2 shown]
	s_waitcnt vmcnt(0)
	v_dot4c_i32_i8_e32 v8, v0, v7
	buffer_load_dword v0, off, s[0:3], 0 offset:192
	s_waitcnt vmcnt(0)
	v_dot4c_i32_i8_e32 v0, v1, v4
	s_nop 2
	buffer_store_dword v0, off, s[0:3], 0 offset:192
	buffer_load_dword v0, off, s[0:3], 0 offset:196
	s_waitcnt vmcnt(0)
	v_dot4c_i32_i8_e32 v0, v1, v5
	s_nop 2
	buffer_store_dword v0, off, s[0:3], 0 offset:196
	;; [unrolled: 5-line block ×4, first 2 shown]
	buffer_load_dword v0, off, s[0:3], 0 offset:224
	v_mov_b32_e32 v1, s29
	buffer_store_dword v8, off, s[0:3], 0 offset:172
	v_mov_b32_e32 v8, s28
	s_waitcnt vmcnt(1)
	v_dot4c_i32_i8_e32 v0, v2, v4
	s_nop 2
	buffer_store_dword v0, off, s[0:3], 0 offset:224
	buffer_load_dword v0, off, s[0:3], 0 offset:228
	s_waitcnt vmcnt(0)
	v_dot4c_i32_i8_e32 v0, v2, v5
	s_nop 2
	buffer_store_dword v0, off, s[0:3], 0 offset:228
	buffer_load_dword v0, off, s[0:3], 0 offset:232
	;; [unrolled: 5-line block ×4, first 2 shown]
	v_mov_b32_e32 v2, s77
	s_waitcnt vmcnt(0)
	v_dot4c_i32_i8_e32 v0, v3, v4
	s_nop 2
	buffer_store_dword v0, off, s[0:3], 0 offset:256
	buffer_load_dword v0, off, s[0:3], 0 offset:260
	v_mov_b32_e32 v4, s94
	s_waitcnt vmcnt(0)
	v_dot4c_i32_i8_e32 v0, v3, v5
	s_nop 2
	buffer_store_dword v0, off, s[0:3], 0 offset:260
	buffer_load_dword v0, off, s[0:3], 0 offset:264
	;; [unrolled: 6-line block ×3, first 2 shown]
	v_mov_b32_e32 v6, s96
	s_waitcnt vmcnt(0)
	v_dot4c_i32_i8_e32 v0, v3, v7
	s_nop 2
	buffer_store_dword v0, off, s[0:3], 0 offset:268
	v_mov_b32_e32 v0, s50
	v_mov_b32_e32 v3, s78
	;; [unrolled: 1-line block ×3, first 2 shown]
	s_swappc_b64 s[30:31], s[44:45]
	buffer_load_dword v0, off, s[0:3], 0 offset:32
	buffer_load_dword v1, off, s[0:3], 0 offset:36
	;; [unrolled: 1-line block ×46, first 2 shown]
	s_add_i32 s68, s68, 32
	s_add_i32 s99, s99, s90
	;; [unrolled: 1-line block ×3, first 2 shown]
	v_add_u32_e32 v42, s90, v42
	v_add_u32_e32 v55, s91, v55
	;; [unrolled: 1-line block ×4, first 2 shown]
	v_subrev_u32_e32 v51, s91, v51
	s_cmp_lt_i32 s68, s89
	v_add_u32_e32 v52, s91, v52
	s_waitcnt vmcnt(39)
	v_dot4c_i32_i8_e32 v6, v4, v0
	s_waitcnt vmcnt(38)
	v_dot4c_i32_i8_e32 v7, v4, v1
	;; [unrolled: 2-line block ×15, first 2 shown]
	v_perm_b32 v2, v69, v69, s85
	s_waitcnt vmcnt(22)
	v_dot4c_i32_i8_e32 v23, v19, v3
	v_perm_b32 v3, v64, v64, s85
	s_waitcnt vmcnt(17)
	v_dot4c_i32_i8_e32 v28, v4, v24
	s_waitcnt vmcnt(16)
	v_dot4c_i32_i8_e32 v29, v4, v27
	;; [unrolled: 2-line block ×16, first 2 shown]
	buffer_store_dword v6, off, s[0:3], 0 offset:272
	buffer_store_dword v7, off, s[0:3], 0 offset:276
	;; [unrolled: 1-line block ×18, first 2 shown]
	s_waitcnt vmcnt(18)
	v_add_co_u32_e32 v0, vcc, v87, v34
	v_addc_co_u32_e32 v1, vcc, 0, v86, vcc
	buffer_store_dword v30, off, s[0:3], 0 offset:296
	buffer_store_dword v31, off, s[0:3], 0 offset:300
	;; [unrolled: 1-line block ×14, first 2 shown]
	flat_store_dword v[0:1], v2
	flat_store_dword v[0:1], v68 offset:512
	v_perm_b32 v2, v63, v63, s85
	flat_store_dword v[0:1], v2 offset:1024
	flat_store_dword v[0:1], v62 offset:1536
	v_perm_b32 v2, v71, v71, s85
	flat_store_dword v[0:1], v2 offset:2048
	;; [unrolled: 3-line block ×3, first 2 shown]
	flat_store_dword v[0:1], v59 offset:3584
	buffer_load_dword v0, off, s[0:3], 0 offset:416
	s_nop 0
	buffer_load_dword v1, off, s[0:3], 0 offset:420
	v_perm_b32 v2, v73, v73, s85
	v_perm_b32 v4, v75, v75, s85
	;; [unrolled: 1-line block ×3, first 2 shown]
	s_waitcnt vmcnt(0)
	v_add_co_u32_e32 v0, vcc, v0, v34
	v_addc_co_u32_e32 v1, vcc, 0, v1, vcc
	flat_store_dword v[0:1], v2
	flat_store_dword v[0:1], v58 offset:512
	flat_store_dword v[0:1], v3 offset:1024
	;; [unrolled: 1-line block ×7, first 2 shown]
	s_cbranch_scc1 .LBB11_1
; %bb.2:
	s_waitcnt lgkmcnt(0)
	s_barrier
	buffer_load_dword v0, off, s[0:3], 0 offset:80
	buffer_load_dword v1, off, s[0:3], 0 offset:400
	;; [unrolled: 1-line block ×3, first 2 shown]
	v_mov_b32_e32 v34, 0
	buffer_load_dword v4, off, s[0:3], 0 offset:112
	buffer_load_dword v5, off, s[0:3], 0 offset:416
	;; [unrolled: 1-line block ×13, first 2 shown]
	s_nop 0
	buffer_store_dword v34, off, s[0:3], 0
	buffer_store_dword v34, off, s[0:3], 0 offset:4
	buffer_store_dword v34, off, s[0:3], 0 offset:8
	;; [unrolled: 1-line block ×15, first 2 shown]
	s_load_dwordx2 s[6:7], s[6:7], 0x10
	v_readlane_b32 s4, v88, 0
	s_add_u32 s12, s80, s4
	s_mul_i32 s8, s16, s59
	s_mul_hi_u32 s9, s16, s51
	s_mov_b64 s[4:5], src_private_base
	s_mul_i32 s10, s17, s51
	s_addc_u32 s13, s81, s83
	s_add_i32 s4, s9, s8
	s_mul_i32 s11, s16, s51
	s_add_i32 s4, s4, s10
	s_waitcnt lgkmcnt(0)
	s_add_u32 s16, s6, s11
	s_addc_u32 s17, s7, s4
	s_waitcnt vmcnt(0)
	v_ashrrev_i32_e32 v7, 31, v4
	v_ashrrev_i32_e32 v3, 31, v0
	v_add_co_u32_e32 v12, vcc, v1, v0
	v_addc_co_u32_e32 v13, vcc, v2, v3, vcc
	flat_load_dwordx4 v[0:3], v[12:13]
	v_add_co_u32_e32 v8, vcc, v5, v4
	buffer_load_dword v26, off, s[0:3], 0 offset:212
	buffer_load_dword v27, off, s[0:3], 0 offset:192
	;; [unrolled: 1-line block ×6, first 2 shown]
	v_addc_co_u32_e32 v9, vcc, v6, v7, vcc
	s_waitcnt vmcnt(0) lgkmcnt(0)
	buffer_store_dword v0, off, s[0:3], 0
	buffer_store_dword v1, off, s[0:3], 0 offset:4
	buffer_store_dword v2, off, s[0:3], 0 offset:8
	;; [unrolled: 1-line block ×3, first 2 shown]
	flat_load_dwordx4 v[4:7], v[8:9]
	s_waitcnt vmcnt(0) lgkmcnt(0)
	buffer_store_dword v4, off, s[0:3], 0 offset:32
	buffer_store_dword v5, off, s[0:3], 0 offset:36
	;; [unrolled: 1-line block ×4, first 2 shown]
	flat_load_dwordx4 v[8:11], v[8:9] offset:256
	s_nop 0
	buffer_load_dword v32, off, s[0:3], 0 offset:176
	buffer_load_dword v33, off, s[0:3], 0 offset:208
	;; [unrolled: 1-line block ×16, first 2 shown]
	v_dot4c_i32_i8_e32 v19, v0, v4
	v_dot4c_i32_i8_e32 v16, v0, v5
	;; [unrolled: 1-line block ×8, first 2 shown]
	s_waitcnt vmcnt(0) lgkmcnt(0)
	buffer_store_dword v8, off, s[0:3], 0 offset:48
	buffer_store_dword v9, off, s[0:3], 0 offset:52
	;; [unrolled: 1-line block ×4, first 2 shown]
	flat_load_dwordx4 v[12:15], v[12:13] offset:256
	v_dot4c_i32_i8_e32 v32, v1, v4
	v_dot4c_i32_i8_e32 v33, v2, v4
	;; [unrolled: 1-line block ×24, first 2 shown]
	v_mov_b32_e32 v0, s50
	v_mov_b32_e32 v1, s29
	;; [unrolled: 1-line block ×12, first 2 shown]
	buffer_store_dword v19, off, s[0:3], 0 offset:144
	buffer_store_dword v16, off, s[0:3], 0 offset:148
	;; [unrolled: 1-line block ×32, first 2 shown]
	s_waitcnt vmcnt(0) lgkmcnt(0)
	buffer_store_dword v12, off, s[0:3], 0 offset:16
	buffer_store_dword v13, off, s[0:3], 0 offset:20
	;; [unrolled: 1-line block ×4, first 2 shown]
	s_swappc_b64 s[30:31], s[44:45]
	buffer_load_dword v19, off, s[0:3], 0 offset:32
	buffer_load_dword v33, off, s[0:3], 0 offset:36
	;; [unrolled: 1-line block ×57, first 2 shown]
	s_mov_b32 s19, 0x20000
	s_lshl_b32 s10, s35, 6
	s_lshl_b32 s8, s35, 7
	s_add_i32 s9, s10, s34
	s_sub_i32 s11, s9, s8
	s_mov_b32 s15, s19
	s_waitcnt vmcnt(50)
	v_dot4c_i32_i8_e32 v25, v37, v19
	s_waitcnt vmcnt(49)
	v_dot4c_i32_i8_e32 v24, v37, v33
	;; [unrolled: 2-line block ×12, first 2 shown]
	buffer_store_dword v25, off, s[0:3], 0 offset:272
	buffer_store_dword v24, off, s[0:3], 0 offset:276
	;; [unrolled: 1-line block ×12, first 2 shown]
	s_waitcnt vmcnt(48)
	v_dot4c_i32_i8_e32 v0, v42, v19
	s_waitcnt vmcnt(47)
	v_dot4c_i32_i8_e32 v1, v42, v33
	;; [unrolled: 2-line block ×3, first 2 shown]
	v_lshl_add_u32 v35, s47, 7, v40
	s_waitcnt vmcnt(45)
	v_dot4c_i32_i8_e32 v3, v42, v36
	s_waitcnt vmcnt(43)
	v_dot4c_i32_i8_e32 v29, v37, v43
	v_lshl_add_u32 v33, s46, 7, v39
	s_waitcnt vmcnt(41)
	v_dot4c_i32_i8_e32 v30, v37, v44
	v_mul_lo_u32 v36, v35, s34
	s_waitcnt vmcnt(39)
	v_dot4c_i32_i8_e32 v31, v37, v45
	buffer_store_dword v0, off, s[0:3], 0 offset:368
	s_waitcnt vmcnt(38)
	v_dot4c_i32_i8_e32 v32, v37, v46
	s_waitcnt vmcnt(37)
	v_dot4c_i32_i8_e32 v21, v38, v43
	;; [unrolled: 2-line block ×13, first 2 shown]
	buffer_store_dword v1, off, s[0:3], 0 offset:372
	buffer_store_dword v2, off, s[0:3], 0 offset:376
	;; [unrolled: 1-line block ×19, first 2 shown]
	v_mad_u64_u32 v[36:37], s[4:5], v33, s35, v[36:37]
	buffer_load_dword v19, v36, s[16:19], 0 offen
	v_cmp_gt_i32_e64 s[4:5], s48, v33
	v_cmp_gt_i32_e64 s[6:7], s43, v35
	s_and_b64 vcc, s[6:7], s[4:5]
	v_add_u32_e32 v36, s10, v36
	v_add_u32_e32 v42, 64, v33
	s_waitcnt vmcnt(0)
	v_cndmask_b32_e32 v19, 0, v19, vcc
	v_add_u16_sdwa v37, v19, v47 dst_sel:DWORD dst_unused:UNUSED_PAD src0_sel:BYTE_3 src1_sel:DWORD
	v_add_u16_sdwa v38, v19, v48 dst_sel:DWORD dst_unused:UNUSED_PAD src0_sel:WORD_1 src1_sel:DWORD
	v_add_u16_sdwa v39, v19, v49 dst_sel:DWORD dst_unused:UNUSED_PAD src0_sel:BYTE_1 src1_sel:DWORD
	v_add_u16_e32 v19, v19, v50
	v_max_i16_sdwa v40, sext(v19), v34 dst_sel:DWORD dst_unused:UNUSED_PAD src0_sel:BYTE_0 src1_sel:DWORD
	v_max_i16_sdwa v39, sext(v39), v34 dst_sel:DWORD dst_unused:UNUSED_PAD src0_sel:BYTE_0 src1_sel:DWORD
	;; [unrolled: 1-line block ×4, first 2 shown]
	buffer_store_dword v40, off, s[0:3], 0 offset:144
	buffer_store_dword v41, off, s[0:3], 0 offset:156
	;; [unrolled: 1-line block ×4, first 2 shown]
	buffer_load_dword v19, v36, s[16:19], 0 offen
	v_cmp_gt_i32_e32 vcc, s48, v42
	s_and_b64 s[6:7], s[6:7], vcc
	v_add_u32_e32 v36, s11, v36
	s_waitcnt vmcnt(0)
	v_cndmask_b32_e64 v19, 0, v19, s[6:7]
	v_add_u16_e32 v37, v19, v52
	v_add_u16_sdwa v43, v19, v53 dst_sel:DWORD dst_unused:UNUSED_PAD src0_sel:BYTE_3 src1_sel:DWORD
	v_add_u16_sdwa v44, v19, v58 dst_sel:DWORD dst_unused:UNUSED_PAD src0_sel:WORD_1 src1_sel:DWORD
	v_add_u16_sdwa v19, v19, v51 dst_sel:DWORD dst_unused:UNUSED_PAD src0_sel:BYTE_1 src1_sel:DWORD
	v_max_i16_sdwa v37, sext(v37), v34 dst_sel:DWORD dst_unused:UNUSED_PAD src0_sel:BYTE_0 src1_sel:DWORD
	v_max_i16_sdwa v19, sext(v19), v34 dst_sel:DWORD dst_unused:UNUSED_PAD src0_sel:BYTE_0 src1_sel:DWORD
	;; [unrolled: 1-line block ×4, first 2 shown]
	buffer_store_dword v37, off, s[0:3], 0 offset:160
	buffer_store_dword v43, off, s[0:3], 0 offset:172
	;; [unrolled: 1-line block ×4, first 2 shown]
	buffer_load_dword v19, v36, s[16:19], 0 offen
	v_or_b32_e32 v43, 1, v35
	v_cmp_gt_i32_e64 s[6:7], s43, v43
	s_and_b64 s[8:9], s[6:7], s[4:5]
	v_add_u32_e32 v36, s10, v36
	s_and_b64 s[6:7], s[6:7], vcc
	s_waitcnt vmcnt(0)
	v_cndmask_b32_e64 v19, 0, v19, s[8:9]
	v_add_u16_e32 v37, v19, v54
	v_add_u16_sdwa v44, v19, v57 dst_sel:DWORD dst_unused:UNUSED_PAD src0_sel:BYTE_3 src1_sel:DWORD
	v_add_u16_sdwa v45, v19, v56 dst_sel:DWORD dst_unused:UNUSED_PAD src0_sel:WORD_1 src1_sel:DWORD
	v_add_u16_sdwa v19, v19, v55 dst_sel:DWORD dst_unused:UNUSED_PAD src0_sel:BYTE_1 src1_sel:DWORD
	v_max_i16_sdwa v37, sext(v37), v34 dst_sel:DWORD dst_unused:UNUSED_PAD src0_sel:BYTE_0 src1_sel:DWORD
	v_max_i16_sdwa v19, sext(v19), v34 dst_sel:DWORD dst_unused:UNUSED_PAD src0_sel:BYTE_0 src1_sel:DWORD
	;; [unrolled: 1-line block ×4, first 2 shown]
	buffer_store_dword v37, off, s[0:3], 0 offset:176
	buffer_store_dword v44, off, s[0:3], 0 offset:188
	;; [unrolled: 1-line block ×4, first 2 shown]
	buffer_load_dword v19, v36, s[16:19], 0 offen
	s_nop 0
	buffer_load_dword v37, off, s[0:3], 0 offset:192
	buffer_load_dword v44, off, s[0:3], 0 offset:204
	;; [unrolled: 1-line block ×8, first 2 shown]
	v_add_u32_e32 v36, s11, v36
	s_waitcnt vmcnt(8)
	v_cndmask_b32_e64 v19, 0, v19, s[6:7]
	s_waitcnt vmcnt(7)
	v_add_u16_e32 v37, v19, v37
	s_waitcnt vmcnt(6)
	v_add_u16_sdwa v44, v19, v44 dst_sel:DWORD dst_unused:UNUSED_PAD src0_sel:BYTE_3 src1_sel:DWORD
	s_waitcnt vmcnt(5)
	v_add_u16_sdwa v45, v19, v45 dst_sel:DWORD dst_unused:UNUSED_PAD src0_sel:WORD_1 src1_sel:DWORD
	s_waitcnt vmcnt(4)
	v_add_u16_sdwa v19, v19, v46 dst_sel:DWORD dst_unused:UNUSED_PAD src0_sel:BYTE_1 src1_sel:DWORD
	v_max_i16_sdwa v37, sext(v37), v34 dst_sel:DWORD dst_unused:UNUSED_PAD src0_sel:BYTE_0 src1_sel:DWORD
	v_max_i16_sdwa v19, sext(v19), v34 dst_sel:DWORD dst_unused:UNUSED_PAD src0_sel:BYTE_0 src1_sel:DWORD
	;; [unrolled: 1-line block ×4, first 2 shown]
	buffer_store_dword v37, off, s[0:3], 0 offset:192
	buffer_store_dword v44, off, s[0:3], 0 offset:204
	;; [unrolled: 1-line block ×4, first 2 shown]
	buffer_load_dword v19, v36, s[16:19], 0 offen
	v_or_b32_e32 v44, 2, v35
	v_cmp_gt_i32_e64 s[6:7], s43, v44
	s_and_b64 s[8:9], s[6:7], s[4:5]
	v_add_u32_e32 v37, s10, v36
	s_and_b64 s[6:7], s[6:7], vcc
	v_add_u32_e32 v36, s34, v36
	s_waitcnt vmcnt(0)
	v_cndmask_b32_e64 v19, 0, v19, s[8:9]
	v_add_u16_e32 v45, v19, v47
	v_add_u16_sdwa v46, v19, v50 dst_sel:DWORD dst_unused:UNUSED_PAD src0_sel:BYTE_3 src1_sel:DWORD
	v_add_u16_sdwa v47, v19, v49 dst_sel:DWORD dst_unused:UNUSED_PAD src0_sel:WORD_1 src1_sel:DWORD
	v_add_u16_sdwa v19, v19, v48 dst_sel:DWORD dst_unused:UNUSED_PAD src0_sel:BYTE_1 src1_sel:DWORD
	v_max_i16_sdwa v45, sext(v45), v34 dst_sel:DWORD dst_unused:UNUSED_PAD src0_sel:BYTE_0 src1_sel:DWORD
	v_max_i16_sdwa v19, sext(v19), v34 dst_sel:DWORD dst_unused:UNUSED_PAD src0_sel:BYTE_0 src1_sel:DWORD
	;; [unrolled: 1-line block ×4, first 2 shown]
	buffer_store_dword v45, off, s[0:3], 0 offset:208
	buffer_store_dword v46, off, s[0:3], 0 offset:220
	buffer_store_dword v47, off, s[0:3], 0 offset:216
	buffer_store_dword v19, off, s[0:3], 0 offset:212
	buffer_load_dword v19, v37, s[16:19], 0 offen
	s_nop 0
	buffer_load_dword v37, off, s[0:3], 0 offset:224
	buffer_load_dword v45, off, s[0:3], 0 offset:236
	;; [unrolled: 1-line block ×8, first 2 shown]
	s_waitcnt vmcnt(8)
	v_cndmask_b32_e64 v19, 0, v19, s[6:7]
	s_waitcnt vmcnt(7)
	v_add_u16_e32 v37, v19, v37
	s_waitcnt vmcnt(6)
	v_add_u16_sdwa v45, v19, v45 dst_sel:DWORD dst_unused:UNUSED_PAD src0_sel:BYTE_3 src1_sel:DWORD
	s_waitcnt vmcnt(5)
	v_add_u16_sdwa v46, v19, v46 dst_sel:DWORD dst_unused:UNUSED_PAD src0_sel:WORD_1 src1_sel:DWORD
	s_waitcnt vmcnt(4)
	v_add_u16_sdwa v19, v19, v47 dst_sel:DWORD dst_unused:UNUSED_PAD src0_sel:BYTE_1 src1_sel:DWORD
	v_max_i16_sdwa v37, sext(v37), v34 dst_sel:DWORD dst_unused:UNUSED_PAD src0_sel:BYTE_0 src1_sel:DWORD
	v_max_i16_sdwa v19, sext(v19), v34 dst_sel:DWORD dst_unused:UNUSED_PAD src0_sel:BYTE_0 src1_sel:DWORD
	;; [unrolled: 1-line block ×4, first 2 shown]
	buffer_store_dword v37, off, s[0:3], 0 offset:224
	buffer_store_dword v45, off, s[0:3], 0 offset:236
	;; [unrolled: 1-line block ×4, first 2 shown]
	buffer_load_dword v19, v36, s[16:19], 0 offen
	v_or_b32_e32 v45, 3, v35
	v_cmp_gt_i32_e64 s[6:7], s43, v45
	s_and_b64 s[8:9], s[6:7], s[4:5]
	v_add_u32_e32 v37, s10, v36
	s_and_b64 s[6:7], s[6:7], vcc
	s_waitcnt vmcnt(0)
	v_cndmask_b32_e64 v19, 0, v19, s[8:9]
	v_add_u16_e32 v46, v19, v48
	v_add_u16_sdwa v47, v19, v51 dst_sel:DWORD dst_unused:UNUSED_PAD src0_sel:BYTE_3 src1_sel:DWORD
	v_add_u16_sdwa v48, v19, v50 dst_sel:DWORD dst_unused:UNUSED_PAD src0_sel:WORD_1 src1_sel:DWORD
	v_add_u16_sdwa v19, v19, v49 dst_sel:DWORD dst_unused:UNUSED_PAD src0_sel:BYTE_1 src1_sel:DWORD
	v_max_i16_sdwa v46, sext(v46), v34 dst_sel:DWORD dst_unused:UNUSED_PAD src0_sel:BYTE_0 src1_sel:DWORD
	v_max_i16_sdwa v19, sext(v19), v34 dst_sel:DWORD dst_unused:UNUSED_PAD src0_sel:BYTE_0 src1_sel:DWORD
	;; [unrolled: 1-line block ×4, first 2 shown]
	buffer_store_dword v46, off, s[0:3], 0 offset:240
	buffer_store_dword v47, off, s[0:3], 0 offset:252
	;; [unrolled: 1-line block ×4, first 2 shown]
	buffer_load_dword v19, v37, s[16:19], 0 offen
	s_nop 0
	buffer_load_dword v46, off, s[0:3], 0 offset:256
	buffer_load_dword v47, off, s[0:3], 0 offset:264
	;; [unrolled: 1-line block ×3, first 2 shown]
	v_mad_u64_u32 v[36:37], s[8:9], s34, 61, v[36:37]
	s_waitcnt vmcnt(3)
	v_cndmask_b32_e64 v19, 0, v19, s[6:7]
	s_waitcnt vmcnt(2)
	v_add_u16_e32 v37, v19, v46
	v_add_u16_sdwa v46, v19, v59 dst_sel:DWORD dst_unused:UNUSED_PAD src0_sel:BYTE_3 src1_sel:DWORD
	s_waitcnt vmcnt(1)
	v_add_u16_sdwa v47, v19, v47 dst_sel:DWORD dst_unused:UNUSED_PAD src0_sel:WORD_1 src1_sel:DWORD
	s_waitcnt vmcnt(0)
	v_add_u16_sdwa v19, v19, v48 dst_sel:DWORD dst_unused:UNUSED_PAD src0_sel:BYTE_1 src1_sel:DWORD
	v_max_i16_sdwa v37, sext(v37), v34 dst_sel:DWORD dst_unused:UNUSED_PAD src0_sel:BYTE_0 src1_sel:DWORD
	v_max_i16_sdwa v19, sext(v19), v34 dst_sel:DWORD dst_unused:UNUSED_PAD src0_sel:BYTE_0 src1_sel:DWORD
	;; [unrolled: 1-line block ×4, first 2 shown]
	buffer_store_dword v37, off, s[0:3], 0 offset:256
	buffer_store_dword v46, off, s[0:3], 0 offset:268
	buffer_store_dword v47, off, s[0:3], 0 offset:264
	buffer_store_dword v19, off, s[0:3], 0 offset:260
	buffer_load_dword v37, v36, s[16:19], 0 offen
	v_add_u32_e32 v19, 64, v35
	v_cmp_gt_i32_e64 s[6:7], s43, v19
	s_and_b64 s[8:9], s[6:7], s[4:5]
	v_add_u32_e32 v46, s10, v36
	s_and_b64 s[6:7], s[6:7], vcc
	s_waitcnt vmcnt(0)
	v_cndmask_b32_e64 v37, 0, v37, s[8:9]
	v_add_u16_e32 v25, v37, v25
	v_add_u16_sdwa v27, v37, v27 dst_sel:DWORD dst_unused:UNUSED_PAD src0_sel:BYTE_3 src1_sel:DWORD
	v_add_u16_sdwa v26, v37, v26 dst_sel:DWORD dst_unused:UNUSED_PAD src0_sel:WORD_1 src1_sel:DWORD
	v_add_u16_sdwa v24, v37, v24 dst_sel:DWORD dst_unused:UNUSED_PAD src0_sel:BYTE_1 src1_sel:DWORD
	v_max_i16_sdwa v25, sext(v25), v34 dst_sel:DWORD dst_unused:UNUSED_PAD src0_sel:BYTE_0 src1_sel:DWORD
	v_max_i16_sdwa v24, sext(v24), v34 dst_sel:DWORD dst_unused:UNUSED_PAD src0_sel:BYTE_0 src1_sel:DWORD
	;; [unrolled: 1-line block ×4, first 2 shown]
	buffer_store_dword v25, off, s[0:3], 0 offset:272
	buffer_store_dword v27, off, s[0:3], 0 offset:284
	;; [unrolled: 1-line block ×4, first 2 shown]
	buffer_load_dword v24, v46, s[16:19], 0 offen
	v_add_u32_e32 v25, s34, v36
	s_waitcnt vmcnt(0)
	v_cndmask_b32_e64 v24, 0, v24, s[6:7]
	v_add_u16_e32 v26, v24, v29
	v_add_u16_sdwa v27, v24, v32 dst_sel:DWORD dst_unused:UNUSED_PAD src0_sel:BYTE_3 src1_sel:DWORD
	v_add_u16_sdwa v29, v24, v31 dst_sel:DWORD dst_unused:UNUSED_PAD src0_sel:WORD_1 src1_sel:DWORD
	v_add_u16_sdwa v24, v24, v30 dst_sel:DWORD dst_unused:UNUSED_PAD src0_sel:BYTE_1 src1_sel:DWORD
	v_max_i16_sdwa v26, sext(v26), v34 dst_sel:DWORD dst_unused:UNUSED_PAD src0_sel:BYTE_0 src1_sel:DWORD
	v_max_i16_sdwa v24, sext(v24), v34 dst_sel:DWORD dst_unused:UNUSED_PAD src0_sel:BYTE_0 src1_sel:DWORD
	;; [unrolled: 1-line block ×4, first 2 shown]
	buffer_store_dword v26, off, s[0:3], 0 offset:288
	buffer_store_dword v27, off, s[0:3], 0 offset:300
	;; [unrolled: 1-line block ×4, first 2 shown]
	buffer_load_dword v26, v25, s[16:19], 0 offen
	v_add_u32_e32 v24, 0x41, v35
	v_cmp_gt_i32_e64 s[6:7], s43, v24
	s_and_b64 s[8:9], s[6:7], s[4:5]
	v_add_u32_e32 v27, s10, v25
	s_and_b64 s[6:7], s[6:7], vcc
	s_waitcnt vmcnt(0)
	v_cndmask_b32_e64 v26, 0, v26, s[8:9]
	v_add_u16_e32 v13, v26, v13
	v_add_u16_sdwa v20, v26, v20 dst_sel:DWORD dst_unused:UNUSED_PAD src0_sel:BYTE_3 src1_sel:DWORD
	v_add_u16_sdwa v18, v26, v18 dst_sel:DWORD dst_unused:UNUSED_PAD src0_sel:WORD_1 src1_sel:DWORD
	v_add_u16_sdwa v12, v26, v12 dst_sel:DWORD dst_unused:UNUSED_PAD src0_sel:BYTE_1 src1_sel:DWORD
	v_max_i16_sdwa v13, sext(v13), v34 dst_sel:DWORD dst_unused:UNUSED_PAD src0_sel:BYTE_0 src1_sel:DWORD
	v_max_i16_sdwa v12, sext(v12), v34 dst_sel:DWORD dst_unused:UNUSED_PAD src0_sel:BYTE_0 src1_sel:DWORD
	;; [unrolled: 1-line block ×4, first 2 shown]
	buffer_store_dword v13, off, s[0:3], 0 offset:304
	buffer_store_dword v20, off, s[0:3], 0 offset:316
	;; [unrolled: 1-line block ×4, first 2 shown]
	buffer_load_dword v12, v27, s[16:19], 0 offen
	v_add_u32_e32 v13, s34, v25
	s_waitcnt vmcnt(0)
	v_cndmask_b32_e64 v12, 0, v12, s[6:7]
	v_add_u16_e32 v18, v12, v21
	v_add_u16_sdwa v20, v12, v28 dst_sel:DWORD dst_unused:UNUSED_PAD src0_sel:BYTE_3 src1_sel:DWORD
	v_add_u16_sdwa v21, v12, v23 dst_sel:DWORD dst_unused:UNUSED_PAD src0_sel:WORD_1 src1_sel:DWORD
	v_add_u16_sdwa v12, v12, v22 dst_sel:DWORD dst_unused:UNUSED_PAD src0_sel:BYTE_1 src1_sel:DWORD
	v_max_i16_sdwa v18, sext(v18), v34 dst_sel:DWORD dst_unused:UNUSED_PAD src0_sel:BYTE_0 src1_sel:DWORD
	v_max_i16_sdwa v12, sext(v12), v34 dst_sel:DWORD dst_unused:UNUSED_PAD src0_sel:BYTE_0 src1_sel:DWORD
	;; [unrolled: 1-line block ×4, first 2 shown]
	buffer_store_dword v18, off, s[0:3], 0 offset:320
	buffer_store_dword v20, off, s[0:3], 0 offset:332
	;; [unrolled: 1-line block ×4, first 2 shown]
	buffer_load_dword v12, v13, s[16:19], 0 offen
	v_add_u32_e32 v18, 0x42, v35
	v_cmp_gt_i32_e64 s[6:7], s43, v18
	s_and_b64 s[8:9], s[6:7], s[4:5]
	v_add_u32_e32 v20, s10, v13
	s_and_b64 s[6:7], s[6:7], vcc
	s_waitcnt vmcnt(0)
	v_cndmask_b32_e64 v12, 0, v12, s[8:9]
	v_add_u16_e32 v8, v12, v8
	v_add_u16_sdwa v11, v12, v11 dst_sel:DWORD dst_unused:UNUSED_PAD src0_sel:BYTE_3 src1_sel:DWORD
	v_add_u16_sdwa v10, v12, v10 dst_sel:DWORD dst_unused:UNUSED_PAD src0_sel:WORD_1 src1_sel:DWORD
	v_add_u16_sdwa v9, v12, v9 dst_sel:DWORD dst_unused:UNUSED_PAD src0_sel:BYTE_1 src1_sel:DWORD
	v_max_i16_sdwa v8, sext(v8), v34 dst_sel:DWORD dst_unused:UNUSED_PAD src0_sel:BYTE_0 src1_sel:DWORD
	v_max_i16_sdwa v9, sext(v9), v34 dst_sel:DWORD dst_unused:UNUSED_PAD src0_sel:BYTE_0 src1_sel:DWORD
	;; [unrolled: 1-line block ×4, first 2 shown]
	buffer_store_dword v8, off, s[0:3], 0 offset:336
	buffer_store_dword v11, off, s[0:3], 0 offset:348
	;; [unrolled: 1-line block ×4, first 2 shown]
	buffer_load_dword v8, v20, s[16:19], 0 offen
	v_add_u32_e32 v9, s34, v13
	v_cmp_gt_i32_e64 s[8:9], s33, v35
	s_waitcnt vmcnt(0)
	v_cndmask_b32_e64 v8, 0, v8, s[6:7]
	v_add_u16_e32 v10, v8, v14
	v_add_u16_sdwa v11, v8, v17 dst_sel:DWORD dst_unused:UNUSED_PAD src0_sel:BYTE_3 src1_sel:DWORD
	v_add_u16_sdwa v12, v8, v16 dst_sel:DWORD dst_unused:UNUSED_PAD src0_sel:WORD_1 src1_sel:DWORD
	v_add_u16_sdwa v8, v8, v15 dst_sel:DWORD dst_unused:UNUSED_PAD src0_sel:BYTE_1 src1_sel:DWORD
	v_max_i16_sdwa v10, sext(v10), v34 dst_sel:DWORD dst_unused:UNUSED_PAD src0_sel:BYTE_0 src1_sel:DWORD
	v_max_i16_sdwa v8, sext(v8), v34 dst_sel:DWORD dst_unused:UNUSED_PAD src0_sel:BYTE_0 src1_sel:DWORD
	;; [unrolled: 1-line block ×4, first 2 shown]
	buffer_store_dword v10, off, s[0:3], 0 offset:352
	buffer_store_dword v11, off, s[0:3], 0 offset:364
	buffer_store_dword v12, off, s[0:3], 0 offset:360
	buffer_store_dword v8, off, s[0:3], 0 offset:356
	buffer_load_dword v8, v9, s[16:19], 0 offen
	v_add_u32_e32 v10, 0x43, v35
	v_cmp_gt_i32_e64 s[6:7], s43, v10
	s_and_b64 s[4:5], s[6:7], s[4:5]
	v_add_u32_e32 v9, s10, v9
	s_and_b64 vcc, s[6:7], vcc
	s_waitcnt vmcnt(0)
	v_cndmask_b32_e64 v8, 0, v8, s[4:5]
	v_add_u16_e32 v0, v8, v0
	v_add_u16_sdwa v3, v8, v3 dst_sel:DWORD dst_unused:UNUSED_PAD src0_sel:BYTE_3 src1_sel:DWORD
	v_add_u16_sdwa v2, v8, v2 dst_sel:DWORD dst_unused:UNUSED_PAD src0_sel:WORD_1 src1_sel:DWORD
	v_add_u16_sdwa v1, v8, v1 dst_sel:DWORD dst_unused:UNUSED_PAD src0_sel:BYTE_1 src1_sel:DWORD
	v_max_i16_sdwa v0, sext(v0), v34 dst_sel:DWORD dst_unused:UNUSED_PAD src0_sel:BYTE_0 src1_sel:DWORD
	v_max_i16_sdwa v1, sext(v1), v34 dst_sel:DWORD dst_unused:UNUSED_PAD src0_sel:BYTE_0 src1_sel:DWORD
	;; [unrolled: 1-line block ×4, first 2 shown]
	buffer_store_dword v0, off, s[0:3], 0 offset:368
	buffer_store_dword v3, off, s[0:3], 0 offset:380
	;; [unrolled: 1-line block ×4, first 2 shown]
	buffer_load_dword v2, v9, s[16:19], 0 offen
	v_mul_lo_u32 v0, v35, s22
	v_cmp_gt_i32_e64 s[4:5], s39, v33
	v_mad_u64_u32 v[0:1], s[10:11], v33, s23, v[0:1]
	v_bfrev_b32_e32 v3, 1
	s_and_b64 s[10:11], s[8:9], s[4:5]
	v_lshlrev_b16_e32 v8, 8, v39
	v_lshlrev_b16_e32 v9, 8, v41
	v_cndmask_b32_e64 v1, v3, 0, s[10:11]
	v_or_b32_e32 v8, v40, v8
	v_or_b32_sdwa v9, v38, v9 dst_sel:WORD_1 dst_unused:UNUSED_PAD src0_sel:DWORD src1_sel:DWORD
	v_add_u32_e32 v1, v1, v0
	v_or_b32_sdwa v8, v8, v9 dst_sel:DWORD dst_unused:UNUSED_PAD src0_sel:WORD_0 src1_sel:DWORD
	s_lshl_b32 s11, s23, 6
	s_mov_b32 s10, 0xc0c0500
	s_lshl_b32 s16, s22, 6
	s_waitcnt vmcnt(0)
	v_cndmask_b32_e32 v2, 0, v2, vcc
	v_add_u16_e32 v4, v2, v4
	v_add_u16_sdwa v7, v2, v7 dst_sel:DWORD dst_unused:UNUSED_PAD src0_sel:BYTE_3 src1_sel:DWORD
	v_add_u16_sdwa v6, v2, v6 dst_sel:DWORD dst_unused:UNUSED_PAD src0_sel:WORD_1 src1_sel:DWORD
	v_add_u16_sdwa v2, v2, v5 dst_sel:DWORD dst_unused:UNUSED_PAD src0_sel:BYTE_1 src1_sel:DWORD
	v_max_i16_sdwa v4, sext(v4), v34 dst_sel:DWORD dst_unused:UNUSED_PAD src0_sel:BYTE_0 src1_sel:DWORD
	v_max_i16_sdwa v2, sext(v2), v34 dst_sel:DWORD dst_unused:UNUSED_PAD src0_sel:BYTE_0 src1_sel:DWORD
	;; [unrolled: 1-line block ×4, first 2 shown]
	buffer_store_dword v4, off, s[0:3], 0 offset:384
	buffer_store_dword v6, off, s[0:3], 0 offset:396
	;; [unrolled: 1-line block ×4, first 2 shown]
	buffer_store_dword v8, v1, s[12:15], 0 offen
	buffer_load_dword v1, off, s[0:3], 0 offset:164
	s_nop 0
	buffer_load_dword v2, off, s[0:3], 0 offset:168
	buffer_load_dword v4, off, s[0:3], 0 offset:172
	;; [unrolled: 1-line block ×3, first 2 shown]
	v_cmp_gt_i32_e32 vcc, s39, v42
	s_and_b64 s[6:7], s[8:9], vcc
	v_add_u32_e32 v6, s11, v0
	v_cndmask_b32_e64 v7, v3, 0, s[6:7]
	v_add_u32_e32 v7, v7, v6
	v_cmp_gt_i32_e64 s[6:7], s33, v43
	s_and_b64 s[8:9], s[6:7], vcc
	v_add_u32_e32 v6, s22, v6
	s_and_b64 s[6:7], s[6:7], s[4:5]
	v_add_u32_e32 v0, s22, v0
	s_waitcnt vmcnt(3)
	v_lshlrev_b32_e32 v1, 8, v1
	s_waitcnt vmcnt(2)
	v_lshlrev_b32_e32 v2, 16, v2
	;; [unrolled: 2-line block ×3, first 2 shown]
	v_and_b32_e32 v2, 0xff0000, v2
	s_waitcnt vmcnt(0)
	v_perm_b32 v1, v1, v5, s10
	v_or3_b32 v1, v1, v2, v4
	buffer_store_dword v1, v7, s[12:15], 0 offen
	buffer_load_dword v1, off, s[0:3], 0 offset:196
	s_nop 0
	buffer_load_dword v2, off, s[0:3], 0 offset:200
	buffer_load_dword v4, off, s[0:3], 0 offset:204
	buffer_load_dword v5, off, s[0:3], 0 offset:192
	v_cndmask_b32_e64 v7, v3, 0, s[8:9]
	v_add_u32_e32 v7, v7, v6
	v_add_u32_e32 v6, s22, v6
	s_waitcnt vmcnt(3)
	v_lshlrev_b32_e32 v1, 8, v1
	s_waitcnt vmcnt(2)
	v_lshlrev_b32_e32 v2, 16, v2
	;; [unrolled: 2-line block ×3, first 2 shown]
	v_and_b32_e32 v2, 0xff0000, v2
	s_waitcnt vmcnt(0)
	v_perm_b32 v1, v1, v5, s10
	v_or3_b32 v1, v1, v2, v4
	buffer_store_dword v1, v7, s[12:15], 0 offen
	buffer_load_dword v1, off, s[0:3], 0 offset:180
	s_nop 0
	buffer_load_dword v2, off, s[0:3], 0 offset:184
	buffer_load_dword v4, off, s[0:3], 0 offset:188
	;; [unrolled: 1-line block ×3, first 2 shown]
	v_cndmask_b32_e64 v7, v3, 0, s[6:7]
	v_add_u32_e32 v7, v0, v7
	v_cmp_gt_i32_e64 s[6:7], s33, v44
	s_and_b64 s[8:9], s[6:7], s[4:5]
	s_and_b64 s[6:7], s[6:7], vcc
	s_waitcnt vmcnt(3)
	v_lshlrev_b32_e32 v1, 8, v1
	s_waitcnt vmcnt(2)
	v_lshlrev_b32_e32 v2, 16, v2
	;; [unrolled: 2-line block ×3, first 2 shown]
	v_and_b32_e32 v2, 0xff0000, v2
	s_waitcnt vmcnt(0)
	v_perm_b32 v1, v1, v5, s10
	v_or3_b32 v1, v1, v2, v4
	buffer_store_dword v1, v7, s[12:15], 0 offen
	buffer_load_dword v1, off, s[0:3], 0 offset:212
	s_nop 0
	buffer_load_dword v2, off, s[0:3], 0 offset:216
	buffer_load_dword v4, off, s[0:3], 0 offset:220
	;; [unrolled: 1-line block ×3, first 2 shown]
	v_cndmask_b32_e64 v7, v3, 0, s[8:9]
	v_add3_u32 v0, v7, s22, v0
	s_waitcnt vmcnt(3)
	v_lshlrev_b32_e32 v1, 8, v1
	s_waitcnt vmcnt(2)
	v_lshlrev_b32_e32 v2, 16, v2
	;; [unrolled: 2-line block ×3, first 2 shown]
	v_and_b32_e32 v2, 0xff0000, v2
	s_waitcnt vmcnt(0)
	v_perm_b32 v1, v1, v5, s10
	v_or3_b32 v1, v1, v2, v4
	buffer_store_dword v1, v0, s[12:15], 0 offen
	buffer_load_dword v0, off, s[0:3], 0 offset:228
	s_nop 0
	buffer_load_dword v1, off, s[0:3], 0 offset:232
	buffer_load_dword v2, off, s[0:3], 0 offset:236
	;; [unrolled: 1-line block ×3, first 2 shown]
	v_cndmask_b32_e64 v5, v3, 0, s[6:7]
	v_add_u32_e32 v5, v6, v5
	v_cmp_gt_i32_e64 s[6:7], s33, v45
	s_and_b64 s[8:9], s[6:7], vcc
	v_add_u32_e32 v6, s22, v6
	s_and_b64 s[6:7], s[6:7], s[4:5]
	s_waitcnt vmcnt(3)
	v_lshlrev_b32_e32 v0, 8, v0
	s_waitcnt vmcnt(2)
	v_lshlrev_b32_e32 v1, 16, v1
	;; [unrolled: 2-line block ×3, first 2 shown]
	v_and_b32_e32 v1, 0xff0000, v1
	s_waitcnt vmcnt(0)
	v_perm_b32 v0, v0, v4, s10
	v_or3_b32 v0, v0, v1, v2
	buffer_store_dword v0, v5, s[12:15], 0 offen
	buffer_load_dword v0, off, s[0:3], 0 offset:260
	s_nop 0
	buffer_load_dword v1, off, s[0:3], 0 offset:264
	buffer_load_dword v2, off, s[0:3], 0 offset:268
	;; [unrolled: 1-line block ×3, first 2 shown]
	v_cndmask_b32_e64 v5, v3, 0, s[8:9]
	v_add_u32_e32 v5, v6, v5
	v_subrev_u32_e32 v6, s11, v6
	s_waitcnt vmcnt(3)
	v_lshlrev_b32_e32 v0, 8, v0
	s_waitcnt vmcnt(2)
	v_lshlrev_b32_e32 v1, 16, v1
	;; [unrolled: 2-line block ×3, first 2 shown]
	v_and_b32_e32 v1, 0xff0000, v1
	s_waitcnt vmcnt(0)
	v_perm_b32 v0, v0, v4, s10
	v_or3_b32 v0, v0, v1, v2
	buffer_store_dword v0, v5, s[12:15], 0 offen
	buffer_load_dword v0, off, s[0:3], 0 offset:244
	s_nop 0
	buffer_load_dword v1, off, s[0:3], 0 offset:248
	buffer_load_dword v2, off, s[0:3], 0 offset:252
	buffer_load_dword v4, off, s[0:3], 0 offset:240
	v_cndmask_b32_e64 v5, v3, 0, s[6:7]
	v_add_u32_e32 v5, v6, v5
	v_cmp_gt_i32_e64 s[6:7], s33, v10
	s_and_b64 s[8:9], s[6:7], s[4:5]
	s_and_b64 s[6:7], s[6:7], vcc
	s_waitcnt vmcnt(3)
	v_lshlrev_b32_e32 v0, 8, v0
	s_waitcnt vmcnt(2)
	v_lshlrev_b32_e32 v1, 16, v1
	;; [unrolled: 2-line block ×3, first 2 shown]
	v_and_b32_e32 v1, 0xff0000, v1
	s_waitcnt vmcnt(0)
	v_perm_b32 v0, v0, v4, s10
	v_or3_b32 v0, v0, v1, v2
	buffer_store_dword v0, v5, s[12:15], 0 offen
	buffer_load_dword v0, off, s[0:3], 0 offset:372
	s_nop 0
	buffer_load_dword v1, off, s[0:3], 0 offset:376
	buffer_load_dword v2, off, s[0:3], 0 offset:380
	;; [unrolled: 1-line block ×3, first 2 shown]
	v_cndmask_b32_e64 v5, v3, 0, s[8:9]
	v_add3_u32 v5, v5, s16, v6
	s_add_i32 s8, s23, s22
	v_lshl_add_u32 v6, s8, 6, v6
	s_waitcnt vmcnt(3)
	v_lshlrev_b32_e32 v0, 8, v0
	s_waitcnt vmcnt(2)
	v_lshlrev_b32_e32 v1, 16, v1
	;; [unrolled: 2-line block ×3, first 2 shown]
	v_and_b32_e32 v1, 0xff0000, v1
	s_waitcnt vmcnt(0)
	v_perm_b32 v0, v0, v4, s10
	v_or3_b32 v0, v0, v1, v2
	buffer_store_dword v0, v5, s[12:15], 0 offen
	buffer_load_dword v0, off, s[0:3], 0 offset:388
	s_nop 0
	buffer_load_dword v1, off, s[0:3], 0 offset:392
	buffer_load_dword v2, off, s[0:3], 0 offset:396
	;; [unrolled: 1-line block ×3, first 2 shown]
	v_cndmask_b32_e64 v5, v3, 0, s[6:7]
	v_add_u32_e32 v5, v6, v5
	v_cmp_ge_i32_e64 s[6:7], s33, v10
	s_and_b64 s[6:7], s[6:7], vcc
	v_subrev_u32_e32 v6, s22, v6
	s_waitcnt vmcnt(3)
	v_lshlrev_b32_e32 v0, 8, v0
	s_waitcnt vmcnt(2)
	v_lshlrev_b32_e32 v1, 16, v1
	;; [unrolled: 2-line block ×3, first 2 shown]
	v_and_b32_e32 v1, 0xff0000, v1
	s_waitcnt vmcnt(0)
	v_perm_b32 v0, v0, v4, s10
	v_or3_b32 v0, v0, v1, v2
	buffer_store_dword v0, v5, s[12:15], 0 offen
	buffer_load_dword v0, off, s[0:3], 0 offset:356
	s_nop 0
	buffer_load_dword v1, off, s[0:3], 0 offset:360
	buffer_load_dword v2, off, s[0:3], 0 offset:364
	;; [unrolled: 1-line block ×3, first 2 shown]
	v_cndmask_b32_e64 v5, v3, 0, s[6:7]
	v_add_u32_e32 v5, v6, v5
	v_cmp_gt_i32_e64 s[6:7], s33, v18
	s_and_b64 s[6:7], s[6:7], s[4:5]
	v_subrev_u32_e32 v6, s11, v6
	s_waitcnt vmcnt(3)
	v_lshlrev_b32_e32 v0, 8, v0
	s_waitcnt vmcnt(2)
	v_lshlrev_b32_e32 v1, 16, v1
	;; [unrolled: 2-line block ×3, first 2 shown]
	v_and_b32_e32 v1, 0xff0000, v1
	s_waitcnt vmcnt(0)
	v_perm_b32 v0, v0, v4, s10
	v_or3_b32 v0, v0, v1, v2
	buffer_store_dword v0, v5, s[12:15], 0 offen
	buffer_load_dword v0, off, s[0:3], 0 offset:340
	s_nop 0
	buffer_load_dword v1, off, s[0:3], 0 offset:344
	buffer_load_dword v2, off, s[0:3], 0 offset:348
	;; [unrolled: 1-line block ×3, first 2 shown]
	v_cndmask_b32_e64 v5, v3, 0, s[6:7]
	v_add_u32_e32 v5, v6, v5
	v_cmp_ge_i32_e64 s[6:7], s33, v18
	s_and_b64 s[6:7], s[6:7], s[4:5]
	v_subrev_u32_e32 v6, s22, v6
	s_waitcnt vmcnt(3)
	v_lshlrev_b32_e32 v0, 8, v0
	s_waitcnt vmcnt(2)
	v_lshlrev_b32_e32 v1, 16, v1
	;; [unrolled: 2-line block ×3, first 2 shown]
	v_and_b32_e32 v1, 0xff0000, v1
	s_waitcnt vmcnt(0)
	v_perm_b32 v0, v0, v4, s10
	v_or3_b32 v0, v0, v1, v2
	buffer_store_dword v0, v5, s[12:15], 0 offen
	buffer_load_dword v0, off, s[0:3], 0 offset:308
	s_nop 0
	buffer_load_dword v1, off, s[0:3], 0 offset:312
	buffer_load_dword v2, off, s[0:3], 0 offset:316
	;; [unrolled: 1-line block ×3, first 2 shown]
	v_cndmask_b32_e64 v5, v3, 0, s[6:7]
	v_add_u32_e32 v5, v6, v5
	v_cmp_gt_i32_e64 s[6:7], s33, v24
	s_and_b64 s[6:7], s[6:7], vcc
	v_add_u32_e32 v6, s11, v6
	s_waitcnt vmcnt(3)
	v_lshlrev_b32_e32 v0, 8, v0
	s_waitcnt vmcnt(2)
	v_lshlrev_b32_e32 v1, 16, v1
	;; [unrolled: 2-line block ×3, first 2 shown]
	v_and_b32_e32 v1, 0xff0000, v1
	s_waitcnt vmcnt(0)
	v_perm_b32 v0, v0, v4, s10
	v_or3_b32 v0, v0, v1, v2
	buffer_store_dword v0, v5, s[12:15], 0 offen
	buffer_load_dword v0, off, s[0:3], 0 offset:324
	s_nop 0
	buffer_load_dword v1, off, s[0:3], 0 offset:328
	buffer_load_dword v2, off, s[0:3], 0 offset:332
	;; [unrolled: 1-line block ×3, first 2 shown]
	v_cndmask_b32_e64 v5, v3, 0, s[6:7]
	v_add_u32_e32 v5, v6, v5
	v_cmp_ge_i32_e64 s[6:7], s33, v24
	s_and_b64 s[6:7], s[6:7], vcc
	v_subrev_u32_e32 v6, s22, v6
	v_cmp_gt_i32_e32 vcc, s33, v19
	s_and_b64 s[4:5], vcc, s[4:5]
	s_waitcnt vmcnt(3)
	v_lshlrev_b32_e32 v0, 8, v0
	s_waitcnt vmcnt(2)
	v_lshlrev_b32_e32 v1, 16, v1
	;; [unrolled: 2-line block ×3, first 2 shown]
	v_and_b32_e32 v1, 0xff0000, v1
	s_waitcnt vmcnt(0)
	v_perm_b32 v0, v0, v4, s10
	v_or3_b32 v0, v0, v1, v2
	buffer_store_dword v0, v5, s[12:15], 0 offen
	buffer_load_dword v0, off, s[0:3], 0 offset:292
	s_nop 0
	buffer_load_dword v1, off, s[0:3], 0 offset:296
	buffer_load_dword v2, off, s[0:3], 0 offset:300
	;; [unrolled: 1-line block ×3, first 2 shown]
	v_cndmask_b32_e64 v5, v3, 0, s[6:7]
	v_add_u32_e32 v5, v6, v5
	v_cndmask_b32_e64 v3, v3, 0, s[4:5]
	v_subrev_u32_e32 v3, s11, v3
	s_waitcnt vmcnt(3)
	v_lshlrev_b32_e32 v0, 8, v0
	s_waitcnt vmcnt(2)
	v_lshlrev_b32_e32 v1, 16, v1
	s_waitcnt vmcnt(1)
	v_lshlrev_b32_e32 v2, 24, v2
	v_and_b32_e32 v1, 0xff0000, v1
	s_waitcnt vmcnt(0)
	v_perm_b32 v0, v0, v4, s10
	v_or3_b32 v0, v0, v1, v2
	buffer_store_dword v0, v5, s[12:15], 0 offen
	buffer_load_dword v0, off, s[0:3], 0 offset:276
	s_nop 0
	buffer_load_dword v1, off, s[0:3], 0 offset:280
	buffer_load_dword v2, off, s[0:3], 0 offset:284
	;; [unrolled: 1-line block ×3, first 2 shown]
	s_waitcnt vmcnt(3)
	v_lshlrev_b32_e32 v0, 8, v0
	s_waitcnt vmcnt(2)
	v_lshlrev_b32_e32 v1, 16, v1
	;; [unrolled: 2-line block ×3, first 2 shown]
	v_and_b32_e32 v1, 0xff0000, v1
	s_waitcnt vmcnt(0)
	v_perm_b32 v0, v0, v4, s10
	v_or3_b32 v0, v0, v1, v2
	v_add_u32_e32 v1, v3, v6
	buffer_store_dword v0, v1, s[12:15], 0 offen
	s_endpgm
	.section	.rodata,"a",@progbits
	.p2align	6, 0x0
	.amdhsa_kernel _ZN2ck16tensor_operation6device12_GLOBAL__N_137kernel_grouped_conv_fwd_dl_multiple_dINS_32GridwiseGemmDlMultipleD_km_kn_mnILi256EaiNS_5TupleIJaEEEaNS0_12element_wise11PassThroughES8_NS7_7AddReluELNS_25InMemoryDataOperationEnumE0ENS_16TensorDescriptorINS5_IJNS_5EmbedINS5_IJiiiiiEEESD_Lb0EEENS_11PassThroughIiEENS_3PadIiiiLb0EEESI_SI_SG_SG_NSC_INS5_IJiiEEESJ_Lb0EEESK_SK_SG_NS_23Merge_v2_magic_divisionINS5_IJiiiiEEEEESN_NS_8RightPadIiiLb0EEESP_NS_7UnMergeISJ_Lb0EEESG_EEENS5_IJNS_8SequenceIJLi0EEEENST_IJLi1EEEENST_IJLi2EEEENST_IJLi3EEEENST_IJLi4EEEENST_IJLi5EEEENST_IJLi6EEEENST_IJLi7EEEENST_IJLi8EEEENST_IJLi9EEEENST_IJLi10EEEENST_IJLi11ELi13ELi15ELi17EEEENST_IJLi12ELi14ELi16ELi18EEEENST_IJLi19EEEENST_IJLi20EEEENST_IJLi22EEEENST_IJLi21EEEEEEENS5_IJNST_IJLi1ELi2ELi3ELi4ELi5EEEES10_S11_S12_S13_S14_NST_IJLi11EEEENST_IJLi12ELi13EEEENST_IJLi14ELi15EEEENST_IJLi16ELi17EEEENST_IJLi18EEEES17_S18_S1A_S19_NST_IJLi23ELi24EEEENST_IJLi25EEEEEEENST_IJLi23ELi25ELi24EEEElEENSB_INS5_IJSR_SP_SP_SR_SG_EEENS5_IJSU_SV_SW_SY_SX_EEENS5_IJNST_IJLi1ELi2EEEESX_SY_NST_IJLi5ELi6EEEES11_EEENST_IJLi5ELi7ELi6EEEElEENSB_INS5_IJSK_SP_SP_EEENS5_IJSU_SV_SW_EEENS5_IJS1P_SX_SY_EEENST_IJLi3ELi4EEEElEELi128ELi128ELi16ELi4ELi4ELi4ELi1ENST_IJLi8ELi2EEEES1Z_NST_IJLi8ELi1ELi1ELi4EEEENST_IJLi2ELi1ELi128ELi1EEEENST_IJLi1ELi2ELi0ELi3EEEES22_NST_IJLi4ELi1ELi1ELi4EEEES22_NST_IJLi1ELi1ELi1ELi4EEEES20_S21_S22_S22_S23_S22_S24_NST_IJLi0ELi1ELi2ELi3ELi4ELi5EEEELi5ELi4EEEaNS5_IJPKaEEEaS8_S8_S9_NSB_INS5_IJSE_SG_SI_SI_SI_SG_SG_SK_SK_SK_SG_SN_SN_SP_SP_SR_SG_SG_NSQ_INS5_IJiNS_17integral_constantIiLi128EEEEEELb0EEENSF_INS2A_IiLi4EEEEEEEENS5_IJSU_SV_SW_SX_SY_SZ_S10_S11_S12_S13_S14_S15_S16_S17_S18_S19_S1A_NST_IJLi23EEEES1J_NST_IJLi24EEEEEEENS5_IJS1C_S10_S11_S12_S13_S14_S1D_S1E_S1F_S1G_S1H_S17_S18_S1A_S19_S1I_S1J_NST_IJLi26EEEENST_IJLi27ELi28EEEENST_IJLi29EEEEEEENST_IJLi26ELi27ELi28ELi29EEEElEENSB_INS5_IJSR_SP_SP_SR_SG_SG_S2D_S2F_EEENS5_IJSU_SV_SW_SY_SX_SZ_S11_S10_EEENS5_IJS1P_SX_SY_S1Q_S11_S12_NST_IJLi9ELi10EEEES1D_EEENST_IJLi8ELi9ELi10ELi11EEEElEENS5_IJNSB_INS5_IJSK_SP_SP_NSQ_INS5_IJiNS2A_IiLi2EEENS2A_IiLi64EEEEEELb0EEES2Z_EEENS5_IJSU_SV_SW_SX_SY_EEENS5_IJS1P_SX_SY_NST_IJLi5ELi6ELi7EEEENST_IJLi8ELi9ELi10EEEEEEENST_IJLi5ELi6ELi7ELi8ELi9ELi10EEEElEEEEES36_NS_31BlockToCTileMap_M00_N00_M01_N01ILi128ELi128ES1Y_Lb0EEENS1_30ComputePtrOffsetOfStridedBatchILi1ELi1ELi1EvEELb1ELb0EEEvPKT0_S3E_T1_PT2_T3_T4_T5_iT6_T7_T8_T9_T10_T11_
		.amdhsa_group_segment_fixed_size 32768
		.amdhsa_private_segment_fixed_size 480
		.amdhsa_kernarg_size 1024
		.amdhsa_user_sgpr_count 8
		.amdhsa_user_sgpr_private_segment_buffer 1
		.amdhsa_user_sgpr_dispatch_ptr 0
		.amdhsa_user_sgpr_queue_ptr 0
		.amdhsa_user_sgpr_kernarg_segment_ptr 1
		.amdhsa_user_sgpr_dispatch_id 0
		.amdhsa_user_sgpr_flat_scratch_init 1
		.amdhsa_user_sgpr_kernarg_preload_length 0
		.amdhsa_user_sgpr_kernarg_preload_offset 0
		.amdhsa_user_sgpr_private_segment_size 0
		.amdhsa_uses_dynamic_stack 0
		.amdhsa_system_sgpr_private_segment_wavefront_offset 1
		.amdhsa_system_sgpr_workgroup_id_x 1
		.amdhsa_system_sgpr_workgroup_id_y 0
		.amdhsa_system_sgpr_workgroup_id_z 0
		.amdhsa_system_sgpr_workgroup_info 0
		.amdhsa_system_vgpr_workitem_id 0
		.amdhsa_next_free_vgpr 89
		.amdhsa_next_free_sgpr 100
		.amdhsa_accum_offset 92
		.amdhsa_reserve_vcc 1
		.amdhsa_reserve_flat_scratch 1
		.amdhsa_float_round_mode_32 0
		.amdhsa_float_round_mode_16_64 0
		.amdhsa_float_denorm_mode_32 3
		.amdhsa_float_denorm_mode_16_64 3
		.amdhsa_dx10_clamp 1
		.amdhsa_ieee_mode 1
		.amdhsa_fp16_overflow 0
		.amdhsa_tg_split 0
		.amdhsa_exception_fp_ieee_invalid_op 0
		.amdhsa_exception_fp_denorm_src 0
		.amdhsa_exception_fp_ieee_div_zero 0
		.amdhsa_exception_fp_ieee_overflow 0
		.amdhsa_exception_fp_ieee_underflow 0
		.amdhsa_exception_fp_ieee_inexact 0
		.amdhsa_exception_int_div_zero 0
	.end_amdhsa_kernel
	.section	.text._ZN2ck16tensor_operation6device12_GLOBAL__N_137kernel_grouped_conv_fwd_dl_multiple_dINS_32GridwiseGemmDlMultipleD_km_kn_mnILi256EaiNS_5TupleIJaEEEaNS0_12element_wise11PassThroughES8_NS7_7AddReluELNS_25InMemoryDataOperationEnumE0ENS_16TensorDescriptorINS5_IJNS_5EmbedINS5_IJiiiiiEEESD_Lb0EEENS_11PassThroughIiEENS_3PadIiiiLb0EEESI_SI_SG_SG_NSC_INS5_IJiiEEESJ_Lb0EEESK_SK_SG_NS_23Merge_v2_magic_divisionINS5_IJiiiiEEEEESN_NS_8RightPadIiiLb0EEESP_NS_7UnMergeISJ_Lb0EEESG_EEENS5_IJNS_8SequenceIJLi0EEEENST_IJLi1EEEENST_IJLi2EEEENST_IJLi3EEEENST_IJLi4EEEENST_IJLi5EEEENST_IJLi6EEEENST_IJLi7EEEENST_IJLi8EEEENST_IJLi9EEEENST_IJLi10EEEENST_IJLi11ELi13ELi15ELi17EEEENST_IJLi12ELi14ELi16ELi18EEEENST_IJLi19EEEENST_IJLi20EEEENST_IJLi22EEEENST_IJLi21EEEEEEENS5_IJNST_IJLi1ELi2ELi3ELi4ELi5EEEES10_S11_S12_S13_S14_NST_IJLi11EEEENST_IJLi12ELi13EEEENST_IJLi14ELi15EEEENST_IJLi16ELi17EEEENST_IJLi18EEEES17_S18_S1A_S19_NST_IJLi23ELi24EEEENST_IJLi25EEEEEEENST_IJLi23ELi25ELi24EEEElEENSB_INS5_IJSR_SP_SP_SR_SG_EEENS5_IJSU_SV_SW_SY_SX_EEENS5_IJNST_IJLi1ELi2EEEESX_SY_NST_IJLi5ELi6EEEES11_EEENST_IJLi5ELi7ELi6EEEElEENSB_INS5_IJSK_SP_SP_EEENS5_IJSU_SV_SW_EEENS5_IJS1P_SX_SY_EEENST_IJLi3ELi4EEEElEELi128ELi128ELi16ELi4ELi4ELi4ELi1ENST_IJLi8ELi2EEEES1Z_NST_IJLi8ELi1ELi1ELi4EEEENST_IJLi2ELi1ELi128ELi1EEEENST_IJLi1ELi2ELi0ELi3EEEES22_NST_IJLi4ELi1ELi1ELi4EEEES22_NST_IJLi1ELi1ELi1ELi4EEEES20_S21_S22_S22_S23_S22_S24_NST_IJLi0ELi1ELi2ELi3ELi4ELi5EEEELi5ELi4EEEaNS5_IJPKaEEEaS8_S8_S9_NSB_INS5_IJSE_SG_SI_SI_SI_SG_SG_SK_SK_SK_SG_SN_SN_SP_SP_SR_SG_SG_NSQ_INS5_IJiNS_17integral_constantIiLi128EEEEEELb0EEENSF_INS2A_IiLi4EEEEEEEENS5_IJSU_SV_SW_SX_SY_SZ_S10_S11_S12_S13_S14_S15_S16_S17_S18_S19_S1A_NST_IJLi23EEEES1J_NST_IJLi24EEEEEEENS5_IJS1C_S10_S11_S12_S13_S14_S1D_S1E_S1F_S1G_S1H_S17_S18_S1A_S19_S1I_S1J_NST_IJLi26EEEENST_IJLi27ELi28EEEENST_IJLi29EEEEEEENST_IJLi26ELi27ELi28ELi29EEEElEENSB_INS5_IJSR_SP_SP_SR_SG_SG_S2D_S2F_EEENS5_IJSU_SV_SW_SY_SX_SZ_S11_S10_EEENS5_IJS1P_SX_SY_S1Q_S11_S12_NST_IJLi9ELi10EEEES1D_EEENST_IJLi8ELi9ELi10ELi11EEEElEENS5_IJNSB_INS5_IJSK_SP_SP_NSQ_INS5_IJiNS2A_IiLi2EEENS2A_IiLi64EEEEEELb0EEES2Z_EEENS5_IJSU_SV_SW_SX_SY_EEENS5_IJS1P_SX_SY_NST_IJLi5ELi6ELi7EEEENST_IJLi8ELi9ELi10EEEEEEENST_IJLi5ELi6ELi7ELi8ELi9ELi10EEEElEEEEES36_NS_31BlockToCTileMap_M00_N00_M01_N01ILi128ELi128ES1Y_Lb0EEENS1_30ComputePtrOffsetOfStridedBatchILi1ELi1ELi1EvEELb1ELb0EEEvPKT0_S3E_T1_PT2_T3_T4_T5_iT6_T7_T8_T9_T10_T11_,"axG",@progbits,_ZN2ck16tensor_operation6device12_GLOBAL__N_137kernel_grouped_conv_fwd_dl_multiple_dINS_32GridwiseGemmDlMultipleD_km_kn_mnILi256EaiNS_5TupleIJaEEEaNS0_12element_wise11PassThroughES8_NS7_7AddReluELNS_25InMemoryDataOperationEnumE0ENS_16TensorDescriptorINS5_IJNS_5EmbedINS5_IJiiiiiEEESD_Lb0EEENS_11PassThroughIiEENS_3PadIiiiLb0EEESI_SI_SG_SG_NSC_INS5_IJiiEEESJ_Lb0EEESK_SK_SG_NS_23Merge_v2_magic_divisionINS5_IJiiiiEEEEESN_NS_8RightPadIiiLb0EEESP_NS_7UnMergeISJ_Lb0EEESG_EEENS5_IJNS_8SequenceIJLi0EEEENST_IJLi1EEEENST_IJLi2EEEENST_IJLi3EEEENST_IJLi4EEEENST_IJLi5EEEENST_IJLi6EEEENST_IJLi7EEEENST_IJLi8EEEENST_IJLi9EEEENST_IJLi10EEEENST_IJLi11ELi13ELi15ELi17EEEENST_IJLi12ELi14ELi16ELi18EEEENST_IJLi19EEEENST_IJLi20EEEENST_IJLi22EEEENST_IJLi21EEEEEEENS5_IJNST_IJLi1ELi2ELi3ELi4ELi5EEEES10_S11_S12_S13_S14_NST_IJLi11EEEENST_IJLi12ELi13EEEENST_IJLi14ELi15EEEENST_IJLi16ELi17EEEENST_IJLi18EEEES17_S18_S1A_S19_NST_IJLi23ELi24EEEENST_IJLi25EEEEEEENST_IJLi23ELi25ELi24EEEElEENSB_INS5_IJSR_SP_SP_SR_SG_EEENS5_IJSU_SV_SW_SY_SX_EEENS5_IJNST_IJLi1ELi2EEEESX_SY_NST_IJLi5ELi6EEEES11_EEENST_IJLi5ELi7ELi6EEEElEENSB_INS5_IJSK_SP_SP_EEENS5_IJSU_SV_SW_EEENS5_IJS1P_SX_SY_EEENST_IJLi3ELi4EEEElEELi128ELi128ELi16ELi4ELi4ELi4ELi1ENST_IJLi8ELi2EEEES1Z_NST_IJLi8ELi1ELi1ELi4EEEENST_IJLi2ELi1ELi128ELi1EEEENST_IJLi1ELi2ELi0ELi3EEEES22_NST_IJLi4ELi1ELi1ELi4EEEES22_NST_IJLi1ELi1ELi1ELi4EEEES20_S21_S22_S22_S23_S22_S24_NST_IJLi0ELi1ELi2ELi3ELi4ELi5EEEELi5ELi4EEEaNS5_IJPKaEEEaS8_S8_S9_NSB_INS5_IJSE_SG_SI_SI_SI_SG_SG_SK_SK_SK_SG_SN_SN_SP_SP_SR_SG_SG_NSQ_INS5_IJiNS_17integral_constantIiLi128EEEEEELb0EEENSF_INS2A_IiLi4EEEEEEEENS5_IJSU_SV_SW_SX_SY_SZ_S10_S11_S12_S13_S14_S15_S16_S17_S18_S19_S1A_NST_IJLi23EEEES1J_NST_IJLi24EEEEEEENS5_IJS1C_S10_S11_S12_S13_S14_S1D_S1E_S1F_S1G_S1H_S17_S18_S1A_S19_S1I_S1J_NST_IJLi26EEEENST_IJLi27ELi28EEEENST_IJLi29EEEEEEENST_IJLi26ELi27ELi28ELi29EEEElEENSB_INS5_IJSR_SP_SP_SR_SG_SG_S2D_S2F_EEENS5_IJSU_SV_SW_SY_SX_SZ_S11_S10_EEENS5_IJS1P_SX_SY_S1Q_S11_S12_NST_IJLi9ELi10EEEES1D_EEENST_IJLi8ELi9ELi10ELi11EEEElEENS5_IJNSB_INS5_IJSK_SP_SP_NSQ_INS5_IJiNS2A_IiLi2EEENS2A_IiLi64EEEEEELb0EEES2Z_EEENS5_IJSU_SV_SW_SX_SY_EEENS5_IJS1P_SX_SY_NST_IJLi5ELi6ELi7EEEENST_IJLi8ELi9ELi10EEEEEEENST_IJLi5ELi6ELi7ELi8ELi9ELi10EEEElEEEEES36_NS_31BlockToCTileMap_M00_N00_M01_N01ILi128ELi128ES1Y_Lb0EEENS1_30ComputePtrOffsetOfStridedBatchILi1ELi1ELi1EvEELb1ELb0EEEvPKT0_S3E_T1_PT2_T3_T4_T5_iT6_T7_T8_T9_T10_T11_,comdat
.Lfunc_end11:
	.size	_ZN2ck16tensor_operation6device12_GLOBAL__N_137kernel_grouped_conv_fwd_dl_multiple_dINS_32GridwiseGemmDlMultipleD_km_kn_mnILi256EaiNS_5TupleIJaEEEaNS0_12element_wise11PassThroughES8_NS7_7AddReluELNS_25InMemoryDataOperationEnumE0ENS_16TensorDescriptorINS5_IJNS_5EmbedINS5_IJiiiiiEEESD_Lb0EEENS_11PassThroughIiEENS_3PadIiiiLb0EEESI_SI_SG_SG_NSC_INS5_IJiiEEESJ_Lb0EEESK_SK_SG_NS_23Merge_v2_magic_divisionINS5_IJiiiiEEEEESN_NS_8RightPadIiiLb0EEESP_NS_7UnMergeISJ_Lb0EEESG_EEENS5_IJNS_8SequenceIJLi0EEEENST_IJLi1EEEENST_IJLi2EEEENST_IJLi3EEEENST_IJLi4EEEENST_IJLi5EEEENST_IJLi6EEEENST_IJLi7EEEENST_IJLi8EEEENST_IJLi9EEEENST_IJLi10EEEENST_IJLi11ELi13ELi15ELi17EEEENST_IJLi12ELi14ELi16ELi18EEEENST_IJLi19EEEENST_IJLi20EEEENST_IJLi22EEEENST_IJLi21EEEEEEENS5_IJNST_IJLi1ELi2ELi3ELi4ELi5EEEES10_S11_S12_S13_S14_NST_IJLi11EEEENST_IJLi12ELi13EEEENST_IJLi14ELi15EEEENST_IJLi16ELi17EEEENST_IJLi18EEEES17_S18_S1A_S19_NST_IJLi23ELi24EEEENST_IJLi25EEEEEEENST_IJLi23ELi25ELi24EEEElEENSB_INS5_IJSR_SP_SP_SR_SG_EEENS5_IJSU_SV_SW_SY_SX_EEENS5_IJNST_IJLi1ELi2EEEESX_SY_NST_IJLi5ELi6EEEES11_EEENST_IJLi5ELi7ELi6EEEElEENSB_INS5_IJSK_SP_SP_EEENS5_IJSU_SV_SW_EEENS5_IJS1P_SX_SY_EEENST_IJLi3ELi4EEEElEELi128ELi128ELi16ELi4ELi4ELi4ELi1ENST_IJLi8ELi2EEEES1Z_NST_IJLi8ELi1ELi1ELi4EEEENST_IJLi2ELi1ELi128ELi1EEEENST_IJLi1ELi2ELi0ELi3EEEES22_NST_IJLi4ELi1ELi1ELi4EEEES22_NST_IJLi1ELi1ELi1ELi4EEEES20_S21_S22_S22_S23_S22_S24_NST_IJLi0ELi1ELi2ELi3ELi4ELi5EEEELi5ELi4EEEaNS5_IJPKaEEEaS8_S8_S9_NSB_INS5_IJSE_SG_SI_SI_SI_SG_SG_SK_SK_SK_SG_SN_SN_SP_SP_SR_SG_SG_NSQ_INS5_IJiNS_17integral_constantIiLi128EEEEEELb0EEENSF_INS2A_IiLi4EEEEEEEENS5_IJSU_SV_SW_SX_SY_SZ_S10_S11_S12_S13_S14_S15_S16_S17_S18_S19_S1A_NST_IJLi23EEEES1J_NST_IJLi24EEEEEEENS5_IJS1C_S10_S11_S12_S13_S14_S1D_S1E_S1F_S1G_S1H_S17_S18_S1A_S19_S1I_S1J_NST_IJLi26EEEENST_IJLi27ELi28EEEENST_IJLi29EEEEEEENST_IJLi26ELi27ELi28ELi29EEEElEENSB_INS5_IJSR_SP_SP_SR_SG_SG_S2D_S2F_EEENS5_IJSU_SV_SW_SY_SX_SZ_S11_S10_EEENS5_IJS1P_SX_SY_S1Q_S11_S12_NST_IJLi9ELi10EEEES1D_EEENST_IJLi8ELi9ELi10ELi11EEEElEENS5_IJNSB_INS5_IJSK_SP_SP_NSQ_INS5_IJiNS2A_IiLi2EEENS2A_IiLi64EEEEEELb0EEES2Z_EEENS5_IJSU_SV_SW_SX_SY_EEENS5_IJS1P_SX_SY_NST_IJLi5ELi6ELi7EEEENST_IJLi8ELi9ELi10EEEEEEENST_IJLi5ELi6ELi7ELi8ELi9ELi10EEEElEEEEES36_NS_31BlockToCTileMap_M00_N00_M01_N01ILi128ELi128ES1Y_Lb0EEENS1_30ComputePtrOffsetOfStridedBatchILi1ELi1ELi1EvEELb1ELb0EEEvPKT0_S3E_T1_PT2_T3_T4_T5_iT6_T7_T8_T9_T10_T11_, .Lfunc_end11-_ZN2ck16tensor_operation6device12_GLOBAL__N_137kernel_grouped_conv_fwd_dl_multiple_dINS_32GridwiseGemmDlMultipleD_km_kn_mnILi256EaiNS_5TupleIJaEEEaNS0_12element_wise11PassThroughES8_NS7_7AddReluELNS_25InMemoryDataOperationEnumE0ENS_16TensorDescriptorINS5_IJNS_5EmbedINS5_IJiiiiiEEESD_Lb0EEENS_11PassThroughIiEENS_3PadIiiiLb0EEESI_SI_SG_SG_NSC_INS5_IJiiEEESJ_Lb0EEESK_SK_SG_NS_23Merge_v2_magic_divisionINS5_IJiiiiEEEEESN_NS_8RightPadIiiLb0EEESP_NS_7UnMergeISJ_Lb0EEESG_EEENS5_IJNS_8SequenceIJLi0EEEENST_IJLi1EEEENST_IJLi2EEEENST_IJLi3EEEENST_IJLi4EEEENST_IJLi5EEEENST_IJLi6EEEENST_IJLi7EEEENST_IJLi8EEEENST_IJLi9EEEENST_IJLi10EEEENST_IJLi11ELi13ELi15ELi17EEEENST_IJLi12ELi14ELi16ELi18EEEENST_IJLi19EEEENST_IJLi20EEEENST_IJLi22EEEENST_IJLi21EEEEEEENS5_IJNST_IJLi1ELi2ELi3ELi4ELi5EEEES10_S11_S12_S13_S14_NST_IJLi11EEEENST_IJLi12ELi13EEEENST_IJLi14ELi15EEEENST_IJLi16ELi17EEEENST_IJLi18EEEES17_S18_S1A_S19_NST_IJLi23ELi24EEEENST_IJLi25EEEEEEENST_IJLi23ELi25ELi24EEEElEENSB_INS5_IJSR_SP_SP_SR_SG_EEENS5_IJSU_SV_SW_SY_SX_EEENS5_IJNST_IJLi1ELi2EEEESX_SY_NST_IJLi5ELi6EEEES11_EEENST_IJLi5ELi7ELi6EEEElEENSB_INS5_IJSK_SP_SP_EEENS5_IJSU_SV_SW_EEENS5_IJS1P_SX_SY_EEENST_IJLi3ELi4EEEElEELi128ELi128ELi16ELi4ELi4ELi4ELi1ENST_IJLi8ELi2EEEES1Z_NST_IJLi8ELi1ELi1ELi4EEEENST_IJLi2ELi1ELi128ELi1EEEENST_IJLi1ELi2ELi0ELi3EEEES22_NST_IJLi4ELi1ELi1ELi4EEEES22_NST_IJLi1ELi1ELi1ELi4EEEES20_S21_S22_S22_S23_S22_S24_NST_IJLi0ELi1ELi2ELi3ELi4ELi5EEEELi5ELi4EEEaNS5_IJPKaEEEaS8_S8_S9_NSB_INS5_IJSE_SG_SI_SI_SI_SG_SG_SK_SK_SK_SG_SN_SN_SP_SP_SR_SG_SG_NSQ_INS5_IJiNS_17integral_constantIiLi128EEEEEELb0EEENSF_INS2A_IiLi4EEEEEEEENS5_IJSU_SV_SW_SX_SY_SZ_S10_S11_S12_S13_S14_S15_S16_S17_S18_S19_S1A_NST_IJLi23EEEES1J_NST_IJLi24EEEEEEENS5_IJS1C_S10_S11_S12_S13_S14_S1D_S1E_S1F_S1G_S1H_S17_S18_S1A_S19_S1I_S1J_NST_IJLi26EEEENST_IJLi27ELi28EEEENST_IJLi29EEEEEEENST_IJLi26ELi27ELi28ELi29EEEElEENSB_INS5_IJSR_SP_SP_SR_SG_SG_S2D_S2F_EEENS5_IJSU_SV_SW_SY_SX_SZ_S11_S10_EEENS5_IJS1P_SX_SY_S1Q_S11_S12_NST_IJLi9ELi10EEEES1D_EEENST_IJLi8ELi9ELi10ELi11EEEElEENS5_IJNSB_INS5_IJSK_SP_SP_NSQ_INS5_IJiNS2A_IiLi2EEENS2A_IiLi64EEEEEELb0EEES2Z_EEENS5_IJSU_SV_SW_SX_SY_EEENS5_IJS1P_SX_SY_NST_IJLi5ELi6ELi7EEEENST_IJLi8ELi9ELi10EEEEEEENST_IJLi5ELi6ELi7ELi8ELi9ELi10EEEElEEEEES36_NS_31BlockToCTileMap_M00_N00_M01_N01ILi128ELi128ES1Y_Lb0EEENS1_30ComputePtrOffsetOfStridedBatchILi1ELi1ELi1EvEELb1ELb0EEEvPKT0_S3E_T1_PT2_T3_T4_T5_iT6_T7_T8_T9_T10_T11_
                                        ; -- End function
	.section	.AMDGPU.csdata,"",@progbits
; Kernel info:
; codeLenInByte = 15636
; NumSgprs: 106
; NumVgprs: 89
; NumAgprs: 0
; TotalNumVgprs: 89
; ScratchSize: 480
; MemoryBound: 0
; FloatMode: 240
; IeeeMode: 1
; LDSByteSize: 32768 bytes/workgroup (compile time only)
; SGPRBlocks: 13
; VGPRBlocks: 11
; NumSGPRsForWavesPerEU: 106
; NumVGPRsForWavesPerEU: 89
; AccumOffset: 92
; Occupancy: 2
; WaveLimiterHint : 1
; COMPUTE_PGM_RSRC2:SCRATCH_EN: 1
; COMPUTE_PGM_RSRC2:USER_SGPR: 8
; COMPUTE_PGM_RSRC2:TRAP_HANDLER: 0
; COMPUTE_PGM_RSRC2:TGID_X_EN: 1
; COMPUTE_PGM_RSRC2:TGID_Y_EN: 0
; COMPUTE_PGM_RSRC2:TGID_Z_EN: 0
; COMPUTE_PGM_RSRC2:TIDIG_COMP_CNT: 0
; COMPUTE_PGM_RSRC3_GFX90A:ACCUM_OFFSET: 22
; COMPUTE_PGM_RSRC3_GFX90A:TG_SPLIT: 0
	.section	.text._ZN2ck16tensor_operation6device12_GLOBAL__N_137kernel_grouped_conv_fwd_dl_multiple_dINS_32GridwiseGemmDlMultipleD_km_kn_mnILi256EaiNS_5TupleIJaEEEaNS0_12element_wise11PassThroughES8_NS7_7AddReluELNS_25InMemoryDataOperationEnumE0ENS_16TensorDescriptorINS5_IJNS_5EmbedINS5_IJiiiiiEEESD_Lb0EEENS_11PassThroughIiEENS_3PadIiiiLb0EEESI_SI_SG_SG_NSC_INS5_IJiiEEESJ_Lb0EEESK_SK_SG_NS_23Merge_v2_magic_divisionINS5_IJiiiiEEEEESN_NS_8RightPadIiiLb0EEESP_NS_7UnMergeISJ_Lb0EEESG_EEENS5_IJNS_8SequenceIJLi0EEEENST_IJLi1EEEENST_IJLi2EEEENST_IJLi3EEEENST_IJLi4EEEENST_IJLi5EEEENST_IJLi6EEEENST_IJLi7EEEENST_IJLi8EEEENST_IJLi9EEEENST_IJLi10EEEENST_IJLi11ELi13ELi15ELi17EEEENST_IJLi12ELi14ELi16ELi18EEEENST_IJLi19EEEENST_IJLi20EEEENST_IJLi22EEEENST_IJLi21EEEEEEENS5_IJNST_IJLi1ELi2ELi3ELi4ELi5EEEES10_S11_S12_S13_S14_NST_IJLi11EEEENST_IJLi12ELi13EEEENST_IJLi14ELi15EEEENST_IJLi16ELi17EEEENST_IJLi18EEEES17_S18_S1A_S19_NST_IJLi23ELi24EEEENST_IJLi25EEEEEEENST_IJLi23ELi25ELi24EEEElEENSB_INS5_IJSR_SP_SP_SR_SG_EEENS5_IJSU_SV_SW_SY_SX_EEENS5_IJNST_IJLi1ELi2EEEESX_SY_NST_IJLi5ELi6EEEES11_EEENST_IJLi5ELi7ELi6EEEElEENSB_INS5_IJSK_SP_SP_EEENS5_IJSU_SV_SW_EEENS5_IJS1P_SX_SY_EEENST_IJLi3ELi4EEEElEELi128ELi128ELi16ELi4ELi4ELi4ELi1ENST_IJLi8ELi2EEEES1Z_NST_IJLi8ELi1ELi1ELi4EEEENST_IJLi2ELi1ELi128ELi1EEEENST_IJLi1ELi2ELi0ELi3EEEES22_NST_IJLi4ELi1ELi1ELi4EEEES22_NST_IJLi1ELi1ELi1ELi4EEEES20_S21_S22_S22_S23_S22_S24_NST_IJLi0ELi1ELi2ELi3ELi4ELi5EEEELi5ELi4EEEaNS5_IJPKaEEEaS8_S8_S9_NSB_INS5_IJSE_SG_SI_SI_SI_SG_SG_SK_SK_SK_SG_SN_SN_SP_SP_SR_SG_SG_NSQ_INS5_IJiNS_17integral_constantIiLi128EEEEEELb0EEENSF_INS2A_IiLi4EEEEEEEENS5_IJSU_SV_SW_SX_SY_SZ_S10_S11_S12_S13_S14_S15_S16_S17_S18_S19_S1A_NST_IJLi23EEEES1J_NST_IJLi24EEEEEEENS5_IJS1C_S10_S11_S12_S13_S14_S1D_S1E_S1F_S1G_S1H_S17_S18_S1A_S19_S1I_S1J_NST_IJLi26EEEENST_IJLi27ELi28EEEENST_IJLi29EEEEEEENST_IJLi26ELi27ELi28ELi29EEEElEENSB_INS5_IJSR_SP_SP_SR_SG_SG_S2D_S2F_EEENS5_IJSU_SV_SW_SY_SX_SZ_S11_S10_EEENS5_IJS1P_SX_SY_S1Q_S11_S12_NST_IJLi9ELi10EEEES1D_EEENST_IJLi8ELi9ELi10ELi11EEEElEENS5_IJNSB_INS5_IJSK_SP_SP_NSQ_INS5_IJiNS2A_IiLi2EEENS2A_IiLi64EEEEEELb0EEES2Z_EEENS5_IJSU_SV_SW_SX_SY_EEENS5_IJS1P_SX_SY_NST_IJLi5ELi6ELi7EEEENST_IJLi8ELi9ELi10EEEEEEENST_IJLi5ELi6ELi7ELi8ELi9ELi10EEEElEEEEES36_NS_31BlockToCTileMap_M00_N00_M01_N01ILi128ELi128ES1Y_Lb0EEENS1_30ComputePtrOffsetOfStridedBatchILi1ELi1ELi1EvEELb0ELb1EEEvPKT0_S3E_T1_PT2_T3_T4_T5_iT6_T7_T8_T9_T10_T11_,"axG",@progbits,_ZN2ck16tensor_operation6device12_GLOBAL__N_137kernel_grouped_conv_fwd_dl_multiple_dINS_32GridwiseGemmDlMultipleD_km_kn_mnILi256EaiNS_5TupleIJaEEEaNS0_12element_wise11PassThroughES8_NS7_7AddReluELNS_25InMemoryDataOperationEnumE0ENS_16TensorDescriptorINS5_IJNS_5EmbedINS5_IJiiiiiEEESD_Lb0EEENS_11PassThroughIiEENS_3PadIiiiLb0EEESI_SI_SG_SG_NSC_INS5_IJiiEEESJ_Lb0EEESK_SK_SG_NS_23Merge_v2_magic_divisionINS5_IJiiiiEEEEESN_NS_8RightPadIiiLb0EEESP_NS_7UnMergeISJ_Lb0EEESG_EEENS5_IJNS_8SequenceIJLi0EEEENST_IJLi1EEEENST_IJLi2EEEENST_IJLi3EEEENST_IJLi4EEEENST_IJLi5EEEENST_IJLi6EEEENST_IJLi7EEEENST_IJLi8EEEENST_IJLi9EEEENST_IJLi10EEEENST_IJLi11ELi13ELi15ELi17EEEENST_IJLi12ELi14ELi16ELi18EEEENST_IJLi19EEEENST_IJLi20EEEENST_IJLi22EEEENST_IJLi21EEEEEEENS5_IJNST_IJLi1ELi2ELi3ELi4ELi5EEEES10_S11_S12_S13_S14_NST_IJLi11EEEENST_IJLi12ELi13EEEENST_IJLi14ELi15EEEENST_IJLi16ELi17EEEENST_IJLi18EEEES17_S18_S1A_S19_NST_IJLi23ELi24EEEENST_IJLi25EEEEEEENST_IJLi23ELi25ELi24EEEElEENSB_INS5_IJSR_SP_SP_SR_SG_EEENS5_IJSU_SV_SW_SY_SX_EEENS5_IJNST_IJLi1ELi2EEEESX_SY_NST_IJLi5ELi6EEEES11_EEENST_IJLi5ELi7ELi6EEEElEENSB_INS5_IJSK_SP_SP_EEENS5_IJSU_SV_SW_EEENS5_IJS1P_SX_SY_EEENST_IJLi3ELi4EEEElEELi128ELi128ELi16ELi4ELi4ELi4ELi1ENST_IJLi8ELi2EEEES1Z_NST_IJLi8ELi1ELi1ELi4EEEENST_IJLi2ELi1ELi128ELi1EEEENST_IJLi1ELi2ELi0ELi3EEEES22_NST_IJLi4ELi1ELi1ELi4EEEES22_NST_IJLi1ELi1ELi1ELi4EEEES20_S21_S22_S22_S23_S22_S24_NST_IJLi0ELi1ELi2ELi3ELi4ELi5EEEELi5ELi4EEEaNS5_IJPKaEEEaS8_S8_S9_NSB_INS5_IJSE_SG_SI_SI_SI_SG_SG_SK_SK_SK_SG_SN_SN_SP_SP_SR_SG_SG_NSQ_INS5_IJiNS_17integral_constantIiLi128EEEEEELb0EEENSF_INS2A_IiLi4EEEEEEEENS5_IJSU_SV_SW_SX_SY_SZ_S10_S11_S12_S13_S14_S15_S16_S17_S18_S19_S1A_NST_IJLi23EEEES1J_NST_IJLi24EEEEEEENS5_IJS1C_S10_S11_S12_S13_S14_S1D_S1E_S1F_S1G_S1H_S17_S18_S1A_S19_S1I_S1J_NST_IJLi26EEEENST_IJLi27ELi28EEEENST_IJLi29EEEEEEENST_IJLi26ELi27ELi28ELi29EEEElEENSB_INS5_IJSR_SP_SP_SR_SG_SG_S2D_S2F_EEENS5_IJSU_SV_SW_SY_SX_SZ_S11_S10_EEENS5_IJS1P_SX_SY_S1Q_S11_S12_NST_IJLi9ELi10EEEES1D_EEENST_IJLi8ELi9ELi10ELi11EEEElEENS5_IJNSB_INS5_IJSK_SP_SP_NSQ_INS5_IJiNS2A_IiLi2EEENS2A_IiLi64EEEEEELb0EEES2Z_EEENS5_IJSU_SV_SW_SX_SY_EEENS5_IJS1P_SX_SY_NST_IJLi5ELi6ELi7EEEENST_IJLi8ELi9ELi10EEEEEEENST_IJLi5ELi6ELi7ELi8ELi9ELi10EEEElEEEEES36_NS_31BlockToCTileMap_M00_N00_M01_N01ILi128ELi128ES1Y_Lb0EEENS1_30ComputePtrOffsetOfStridedBatchILi1ELi1ELi1EvEELb0ELb1EEEvPKT0_S3E_T1_PT2_T3_T4_T5_iT6_T7_T8_T9_T10_T11_,comdat
	.globl	_ZN2ck16tensor_operation6device12_GLOBAL__N_137kernel_grouped_conv_fwd_dl_multiple_dINS_32GridwiseGemmDlMultipleD_km_kn_mnILi256EaiNS_5TupleIJaEEEaNS0_12element_wise11PassThroughES8_NS7_7AddReluELNS_25InMemoryDataOperationEnumE0ENS_16TensorDescriptorINS5_IJNS_5EmbedINS5_IJiiiiiEEESD_Lb0EEENS_11PassThroughIiEENS_3PadIiiiLb0EEESI_SI_SG_SG_NSC_INS5_IJiiEEESJ_Lb0EEESK_SK_SG_NS_23Merge_v2_magic_divisionINS5_IJiiiiEEEEESN_NS_8RightPadIiiLb0EEESP_NS_7UnMergeISJ_Lb0EEESG_EEENS5_IJNS_8SequenceIJLi0EEEENST_IJLi1EEEENST_IJLi2EEEENST_IJLi3EEEENST_IJLi4EEEENST_IJLi5EEEENST_IJLi6EEEENST_IJLi7EEEENST_IJLi8EEEENST_IJLi9EEEENST_IJLi10EEEENST_IJLi11ELi13ELi15ELi17EEEENST_IJLi12ELi14ELi16ELi18EEEENST_IJLi19EEEENST_IJLi20EEEENST_IJLi22EEEENST_IJLi21EEEEEEENS5_IJNST_IJLi1ELi2ELi3ELi4ELi5EEEES10_S11_S12_S13_S14_NST_IJLi11EEEENST_IJLi12ELi13EEEENST_IJLi14ELi15EEEENST_IJLi16ELi17EEEENST_IJLi18EEEES17_S18_S1A_S19_NST_IJLi23ELi24EEEENST_IJLi25EEEEEEENST_IJLi23ELi25ELi24EEEElEENSB_INS5_IJSR_SP_SP_SR_SG_EEENS5_IJSU_SV_SW_SY_SX_EEENS5_IJNST_IJLi1ELi2EEEESX_SY_NST_IJLi5ELi6EEEES11_EEENST_IJLi5ELi7ELi6EEEElEENSB_INS5_IJSK_SP_SP_EEENS5_IJSU_SV_SW_EEENS5_IJS1P_SX_SY_EEENST_IJLi3ELi4EEEElEELi128ELi128ELi16ELi4ELi4ELi4ELi1ENST_IJLi8ELi2EEEES1Z_NST_IJLi8ELi1ELi1ELi4EEEENST_IJLi2ELi1ELi128ELi1EEEENST_IJLi1ELi2ELi0ELi3EEEES22_NST_IJLi4ELi1ELi1ELi4EEEES22_NST_IJLi1ELi1ELi1ELi4EEEES20_S21_S22_S22_S23_S22_S24_NST_IJLi0ELi1ELi2ELi3ELi4ELi5EEEELi5ELi4EEEaNS5_IJPKaEEEaS8_S8_S9_NSB_INS5_IJSE_SG_SI_SI_SI_SG_SG_SK_SK_SK_SG_SN_SN_SP_SP_SR_SG_SG_NSQ_INS5_IJiNS_17integral_constantIiLi128EEEEEELb0EEENSF_INS2A_IiLi4EEEEEEEENS5_IJSU_SV_SW_SX_SY_SZ_S10_S11_S12_S13_S14_S15_S16_S17_S18_S19_S1A_NST_IJLi23EEEES1J_NST_IJLi24EEEEEEENS5_IJS1C_S10_S11_S12_S13_S14_S1D_S1E_S1F_S1G_S1H_S17_S18_S1A_S19_S1I_S1J_NST_IJLi26EEEENST_IJLi27ELi28EEEENST_IJLi29EEEEEEENST_IJLi26ELi27ELi28ELi29EEEElEENSB_INS5_IJSR_SP_SP_SR_SG_SG_S2D_S2F_EEENS5_IJSU_SV_SW_SY_SX_SZ_S11_S10_EEENS5_IJS1P_SX_SY_S1Q_S11_S12_NST_IJLi9ELi10EEEES1D_EEENST_IJLi8ELi9ELi10ELi11EEEElEENS5_IJNSB_INS5_IJSK_SP_SP_NSQ_INS5_IJiNS2A_IiLi2EEENS2A_IiLi64EEEEEELb0EEES2Z_EEENS5_IJSU_SV_SW_SX_SY_EEENS5_IJS1P_SX_SY_NST_IJLi5ELi6ELi7EEEENST_IJLi8ELi9ELi10EEEEEEENST_IJLi5ELi6ELi7ELi8ELi9ELi10EEEElEEEEES36_NS_31BlockToCTileMap_M00_N00_M01_N01ILi128ELi128ES1Y_Lb0EEENS1_30ComputePtrOffsetOfStridedBatchILi1ELi1ELi1EvEELb0ELb1EEEvPKT0_S3E_T1_PT2_T3_T4_T5_iT6_T7_T8_T9_T10_T11_ ; -- Begin function _ZN2ck16tensor_operation6device12_GLOBAL__N_137kernel_grouped_conv_fwd_dl_multiple_dINS_32GridwiseGemmDlMultipleD_km_kn_mnILi256EaiNS_5TupleIJaEEEaNS0_12element_wise11PassThroughES8_NS7_7AddReluELNS_25InMemoryDataOperationEnumE0ENS_16TensorDescriptorINS5_IJNS_5EmbedINS5_IJiiiiiEEESD_Lb0EEENS_11PassThroughIiEENS_3PadIiiiLb0EEESI_SI_SG_SG_NSC_INS5_IJiiEEESJ_Lb0EEESK_SK_SG_NS_23Merge_v2_magic_divisionINS5_IJiiiiEEEEESN_NS_8RightPadIiiLb0EEESP_NS_7UnMergeISJ_Lb0EEESG_EEENS5_IJNS_8SequenceIJLi0EEEENST_IJLi1EEEENST_IJLi2EEEENST_IJLi3EEEENST_IJLi4EEEENST_IJLi5EEEENST_IJLi6EEEENST_IJLi7EEEENST_IJLi8EEEENST_IJLi9EEEENST_IJLi10EEEENST_IJLi11ELi13ELi15ELi17EEEENST_IJLi12ELi14ELi16ELi18EEEENST_IJLi19EEEENST_IJLi20EEEENST_IJLi22EEEENST_IJLi21EEEEEEENS5_IJNST_IJLi1ELi2ELi3ELi4ELi5EEEES10_S11_S12_S13_S14_NST_IJLi11EEEENST_IJLi12ELi13EEEENST_IJLi14ELi15EEEENST_IJLi16ELi17EEEENST_IJLi18EEEES17_S18_S1A_S19_NST_IJLi23ELi24EEEENST_IJLi25EEEEEEENST_IJLi23ELi25ELi24EEEElEENSB_INS5_IJSR_SP_SP_SR_SG_EEENS5_IJSU_SV_SW_SY_SX_EEENS5_IJNST_IJLi1ELi2EEEESX_SY_NST_IJLi5ELi6EEEES11_EEENST_IJLi5ELi7ELi6EEEElEENSB_INS5_IJSK_SP_SP_EEENS5_IJSU_SV_SW_EEENS5_IJS1P_SX_SY_EEENST_IJLi3ELi4EEEElEELi128ELi128ELi16ELi4ELi4ELi4ELi1ENST_IJLi8ELi2EEEES1Z_NST_IJLi8ELi1ELi1ELi4EEEENST_IJLi2ELi1ELi128ELi1EEEENST_IJLi1ELi2ELi0ELi3EEEES22_NST_IJLi4ELi1ELi1ELi4EEEES22_NST_IJLi1ELi1ELi1ELi4EEEES20_S21_S22_S22_S23_S22_S24_NST_IJLi0ELi1ELi2ELi3ELi4ELi5EEEELi5ELi4EEEaNS5_IJPKaEEEaS8_S8_S9_NSB_INS5_IJSE_SG_SI_SI_SI_SG_SG_SK_SK_SK_SG_SN_SN_SP_SP_SR_SG_SG_NSQ_INS5_IJiNS_17integral_constantIiLi128EEEEEELb0EEENSF_INS2A_IiLi4EEEEEEEENS5_IJSU_SV_SW_SX_SY_SZ_S10_S11_S12_S13_S14_S15_S16_S17_S18_S19_S1A_NST_IJLi23EEEES1J_NST_IJLi24EEEEEEENS5_IJS1C_S10_S11_S12_S13_S14_S1D_S1E_S1F_S1G_S1H_S17_S18_S1A_S19_S1I_S1J_NST_IJLi26EEEENST_IJLi27ELi28EEEENST_IJLi29EEEEEEENST_IJLi26ELi27ELi28ELi29EEEElEENSB_INS5_IJSR_SP_SP_SR_SG_SG_S2D_S2F_EEENS5_IJSU_SV_SW_SY_SX_SZ_S11_S10_EEENS5_IJS1P_SX_SY_S1Q_S11_S12_NST_IJLi9ELi10EEEES1D_EEENST_IJLi8ELi9ELi10ELi11EEEElEENS5_IJNSB_INS5_IJSK_SP_SP_NSQ_INS5_IJiNS2A_IiLi2EEENS2A_IiLi64EEEEEELb0EEES2Z_EEENS5_IJSU_SV_SW_SX_SY_EEENS5_IJS1P_SX_SY_NST_IJLi5ELi6ELi7EEEENST_IJLi8ELi9ELi10EEEEEEENST_IJLi5ELi6ELi7ELi8ELi9ELi10EEEElEEEEES36_NS_31BlockToCTileMap_M00_N00_M01_N01ILi128ELi128ES1Y_Lb0EEENS1_30ComputePtrOffsetOfStridedBatchILi1ELi1ELi1EvEELb0ELb1EEEvPKT0_S3E_T1_PT2_T3_T4_T5_iT6_T7_T8_T9_T10_T11_
	.p2align	8
	.type	_ZN2ck16tensor_operation6device12_GLOBAL__N_137kernel_grouped_conv_fwd_dl_multiple_dINS_32GridwiseGemmDlMultipleD_km_kn_mnILi256EaiNS_5TupleIJaEEEaNS0_12element_wise11PassThroughES8_NS7_7AddReluELNS_25InMemoryDataOperationEnumE0ENS_16TensorDescriptorINS5_IJNS_5EmbedINS5_IJiiiiiEEESD_Lb0EEENS_11PassThroughIiEENS_3PadIiiiLb0EEESI_SI_SG_SG_NSC_INS5_IJiiEEESJ_Lb0EEESK_SK_SG_NS_23Merge_v2_magic_divisionINS5_IJiiiiEEEEESN_NS_8RightPadIiiLb0EEESP_NS_7UnMergeISJ_Lb0EEESG_EEENS5_IJNS_8SequenceIJLi0EEEENST_IJLi1EEEENST_IJLi2EEEENST_IJLi3EEEENST_IJLi4EEEENST_IJLi5EEEENST_IJLi6EEEENST_IJLi7EEEENST_IJLi8EEEENST_IJLi9EEEENST_IJLi10EEEENST_IJLi11ELi13ELi15ELi17EEEENST_IJLi12ELi14ELi16ELi18EEEENST_IJLi19EEEENST_IJLi20EEEENST_IJLi22EEEENST_IJLi21EEEEEEENS5_IJNST_IJLi1ELi2ELi3ELi4ELi5EEEES10_S11_S12_S13_S14_NST_IJLi11EEEENST_IJLi12ELi13EEEENST_IJLi14ELi15EEEENST_IJLi16ELi17EEEENST_IJLi18EEEES17_S18_S1A_S19_NST_IJLi23ELi24EEEENST_IJLi25EEEEEEENST_IJLi23ELi25ELi24EEEElEENSB_INS5_IJSR_SP_SP_SR_SG_EEENS5_IJSU_SV_SW_SY_SX_EEENS5_IJNST_IJLi1ELi2EEEESX_SY_NST_IJLi5ELi6EEEES11_EEENST_IJLi5ELi7ELi6EEEElEENSB_INS5_IJSK_SP_SP_EEENS5_IJSU_SV_SW_EEENS5_IJS1P_SX_SY_EEENST_IJLi3ELi4EEEElEELi128ELi128ELi16ELi4ELi4ELi4ELi1ENST_IJLi8ELi2EEEES1Z_NST_IJLi8ELi1ELi1ELi4EEEENST_IJLi2ELi1ELi128ELi1EEEENST_IJLi1ELi2ELi0ELi3EEEES22_NST_IJLi4ELi1ELi1ELi4EEEES22_NST_IJLi1ELi1ELi1ELi4EEEES20_S21_S22_S22_S23_S22_S24_NST_IJLi0ELi1ELi2ELi3ELi4ELi5EEEELi5ELi4EEEaNS5_IJPKaEEEaS8_S8_S9_NSB_INS5_IJSE_SG_SI_SI_SI_SG_SG_SK_SK_SK_SG_SN_SN_SP_SP_SR_SG_SG_NSQ_INS5_IJiNS_17integral_constantIiLi128EEEEEELb0EEENSF_INS2A_IiLi4EEEEEEEENS5_IJSU_SV_SW_SX_SY_SZ_S10_S11_S12_S13_S14_S15_S16_S17_S18_S19_S1A_NST_IJLi23EEEES1J_NST_IJLi24EEEEEEENS5_IJS1C_S10_S11_S12_S13_S14_S1D_S1E_S1F_S1G_S1H_S17_S18_S1A_S19_S1I_S1J_NST_IJLi26EEEENST_IJLi27ELi28EEEENST_IJLi29EEEEEEENST_IJLi26ELi27ELi28ELi29EEEElEENSB_INS5_IJSR_SP_SP_SR_SG_SG_S2D_S2F_EEENS5_IJSU_SV_SW_SY_SX_SZ_S11_S10_EEENS5_IJS1P_SX_SY_S1Q_S11_S12_NST_IJLi9ELi10EEEES1D_EEENST_IJLi8ELi9ELi10ELi11EEEElEENS5_IJNSB_INS5_IJSK_SP_SP_NSQ_INS5_IJiNS2A_IiLi2EEENS2A_IiLi64EEEEEELb0EEES2Z_EEENS5_IJSU_SV_SW_SX_SY_EEENS5_IJS1P_SX_SY_NST_IJLi5ELi6ELi7EEEENST_IJLi8ELi9ELi10EEEEEEENST_IJLi5ELi6ELi7ELi8ELi9ELi10EEEElEEEEES36_NS_31BlockToCTileMap_M00_N00_M01_N01ILi128ELi128ES1Y_Lb0EEENS1_30ComputePtrOffsetOfStridedBatchILi1ELi1ELi1EvEELb0ELb1EEEvPKT0_S3E_T1_PT2_T3_T4_T5_iT6_T7_T8_T9_T10_T11_,@function
_ZN2ck16tensor_operation6device12_GLOBAL__N_137kernel_grouped_conv_fwd_dl_multiple_dINS_32GridwiseGemmDlMultipleD_km_kn_mnILi256EaiNS_5TupleIJaEEEaNS0_12element_wise11PassThroughES8_NS7_7AddReluELNS_25InMemoryDataOperationEnumE0ENS_16TensorDescriptorINS5_IJNS_5EmbedINS5_IJiiiiiEEESD_Lb0EEENS_11PassThroughIiEENS_3PadIiiiLb0EEESI_SI_SG_SG_NSC_INS5_IJiiEEESJ_Lb0EEESK_SK_SG_NS_23Merge_v2_magic_divisionINS5_IJiiiiEEEEESN_NS_8RightPadIiiLb0EEESP_NS_7UnMergeISJ_Lb0EEESG_EEENS5_IJNS_8SequenceIJLi0EEEENST_IJLi1EEEENST_IJLi2EEEENST_IJLi3EEEENST_IJLi4EEEENST_IJLi5EEEENST_IJLi6EEEENST_IJLi7EEEENST_IJLi8EEEENST_IJLi9EEEENST_IJLi10EEEENST_IJLi11ELi13ELi15ELi17EEEENST_IJLi12ELi14ELi16ELi18EEEENST_IJLi19EEEENST_IJLi20EEEENST_IJLi22EEEENST_IJLi21EEEEEEENS5_IJNST_IJLi1ELi2ELi3ELi4ELi5EEEES10_S11_S12_S13_S14_NST_IJLi11EEEENST_IJLi12ELi13EEEENST_IJLi14ELi15EEEENST_IJLi16ELi17EEEENST_IJLi18EEEES17_S18_S1A_S19_NST_IJLi23ELi24EEEENST_IJLi25EEEEEEENST_IJLi23ELi25ELi24EEEElEENSB_INS5_IJSR_SP_SP_SR_SG_EEENS5_IJSU_SV_SW_SY_SX_EEENS5_IJNST_IJLi1ELi2EEEESX_SY_NST_IJLi5ELi6EEEES11_EEENST_IJLi5ELi7ELi6EEEElEENSB_INS5_IJSK_SP_SP_EEENS5_IJSU_SV_SW_EEENS5_IJS1P_SX_SY_EEENST_IJLi3ELi4EEEElEELi128ELi128ELi16ELi4ELi4ELi4ELi1ENST_IJLi8ELi2EEEES1Z_NST_IJLi8ELi1ELi1ELi4EEEENST_IJLi2ELi1ELi128ELi1EEEENST_IJLi1ELi2ELi0ELi3EEEES22_NST_IJLi4ELi1ELi1ELi4EEEES22_NST_IJLi1ELi1ELi1ELi4EEEES20_S21_S22_S22_S23_S22_S24_NST_IJLi0ELi1ELi2ELi3ELi4ELi5EEEELi5ELi4EEEaNS5_IJPKaEEEaS8_S8_S9_NSB_INS5_IJSE_SG_SI_SI_SI_SG_SG_SK_SK_SK_SG_SN_SN_SP_SP_SR_SG_SG_NSQ_INS5_IJiNS_17integral_constantIiLi128EEEEEELb0EEENSF_INS2A_IiLi4EEEEEEEENS5_IJSU_SV_SW_SX_SY_SZ_S10_S11_S12_S13_S14_S15_S16_S17_S18_S19_S1A_NST_IJLi23EEEES1J_NST_IJLi24EEEEEEENS5_IJS1C_S10_S11_S12_S13_S14_S1D_S1E_S1F_S1G_S1H_S17_S18_S1A_S19_S1I_S1J_NST_IJLi26EEEENST_IJLi27ELi28EEEENST_IJLi29EEEEEEENST_IJLi26ELi27ELi28ELi29EEEElEENSB_INS5_IJSR_SP_SP_SR_SG_SG_S2D_S2F_EEENS5_IJSU_SV_SW_SY_SX_SZ_S11_S10_EEENS5_IJS1P_SX_SY_S1Q_S11_S12_NST_IJLi9ELi10EEEES1D_EEENST_IJLi8ELi9ELi10ELi11EEEElEENS5_IJNSB_INS5_IJSK_SP_SP_NSQ_INS5_IJiNS2A_IiLi2EEENS2A_IiLi64EEEEEELb0EEES2Z_EEENS5_IJSU_SV_SW_SX_SY_EEENS5_IJS1P_SX_SY_NST_IJLi5ELi6ELi7EEEENST_IJLi8ELi9ELi10EEEEEEENST_IJLi5ELi6ELi7ELi8ELi9ELi10EEEElEEEEES36_NS_31BlockToCTileMap_M00_N00_M01_N01ILi128ELi128ES1Y_Lb0EEENS1_30ComputePtrOffsetOfStridedBatchILi1ELi1ELi1EvEELb0ELb1EEEvPKT0_S3E_T1_PT2_T3_T4_T5_iT6_T7_T8_T9_T10_T11_: ; @_ZN2ck16tensor_operation6device12_GLOBAL__N_137kernel_grouped_conv_fwd_dl_multiple_dINS_32GridwiseGemmDlMultipleD_km_kn_mnILi256EaiNS_5TupleIJaEEEaNS0_12element_wise11PassThroughES8_NS7_7AddReluELNS_25InMemoryDataOperationEnumE0ENS_16TensorDescriptorINS5_IJNS_5EmbedINS5_IJiiiiiEEESD_Lb0EEENS_11PassThroughIiEENS_3PadIiiiLb0EEESI_SI_SG_SG_NSC_INS5_IJiiEEESJ_Lb0EEESK_SK_SG_NS_23Merge_v2_magic_divisionINS5_IJiiiiEEEEESN_NS_8RightPadIiiLb0EEESP_NS_7UnMergeISJ_Lb0EEESG_EEENS5_IJNS_8SequenceIJLi0EEEENST_IJLi1EEEENST_IJLi2EEEENST_IJLi3EEEENST_IJLi4EEEENST_IJLi5EEEENST_IJLi6EEEENST_IJLi7EEEENST_IJLi8EEEENST_IJLi9EEEENST_IJLi10EEEENST_IJLi11ELi13ELi15ELi17EEEENST_IJLi12ELi14ELi16ELi18EEEENST_IJLi19EEEENST_IJLi20EEEENST_IJLi22EEEENST_IJLi21EEEEEEENS5_IJNST_IJLi1ELi2ELi3ELi4ELi5EEEES10_S11_S12_S13_S14_NST_IJLi11EEEENST_IJLi12ELi13EEEENST_IJLi14ELi15EEEENST_IJLi16ELi17EEEENST_IJLi18EEEES17_S18_S1A_S19_NST_IJLi23ELi24EEEENST_IJLi25EEEEEEENST_IJLi23ELi25ELi24EEEElEENSB_INS5_IJSR_SP_SP_SR_SG_EEENS5_IJSU_SV_SW_SY_SX_EEENS5_IJNST_IJLi1ELi2EEEESX_SY_NST_IJLi5ELi6EEEES11_EEENST_IJLi5ELi7ELi6EEEElEENSB_INS5_IJSK_SP_SP_EEENS5_IJSU_SV_SW_EEENS5_IJS1P_SX_SY_EEENST_IJLi3ELi4EEEElEELi128ELi128ELi16ELi4ELi4ELi4ELi1ENST_IJLi8ELi2EEEES1Z_NST_IJLi8ELi1ELi1ELi4EEEENST_IJLi2ELi1ELi128ELi1EEEENST_IJLi1ELi2ELi0ELi3EEEES22_NST_IJLi4ELi1ELi1ELi4EEEES22_NST_IJLi1ELi1ELi1ELi4EEEES20_S21_S22_S22_S23_S22_S24_NST_IJLi0ELi1ELi2ELi3ELi4ELi5EEEELi5ELi4EEEaNS5_IJPKaEEEaS8_S8_S9_NSB_INS5_IJSE_SG_SI_SI_SI_SG_SG_SK_SK_SK_SG_SN_SN_SP_SP_SR_SG_SG_NSQ_INS5_IJiNS_17integral_constantIiLi128EEEEEELb0EEENSF_INS2A_IiLi4EEEEEEEENS5_IJSU_SV_SW_SX_SY_SZ_S10_S11_S12_S13_S14_S15_S16_S17_S18_S19_S1A_NST_IJLi23EEEES1J_NST_IJLi24EEEEEEENS5_IJS1C_S10_S11_S12_S13_S14_S1D_S1E_S1F_S1G_S1H_S17_S18_S1A_S19_S1I_S1J_NST_IJLi26EEEENST_IJLi27ELi28EEEENST_IJLi29EEEEEEENST_IJLi26ELi27ELi28ELi29EEEElEENSB_INS5_IJSR_SP_SP_SR_SG_SG_S2D_S2F_EEENS5_IJSU_SV_SW_SY_SX_SZ_S11_S10_EEENS5_IJS1P_SX_SY_S1Q_S11_S12_NST_IJLi9ELi10EEEES1D_EEENST_IJLi8ELi9ELi10ELi11EEEElEENS5_IJNSB_INS5_IJSK_SP_SP_NSQ_INS5_IJiNS2A_IiLi2EEENS2A_IiLi64EEEEEELb0EEES2Z_EEENS5_IJSU_SV_SW_SX_SY_EEENS5_IJS1P_SX_SY_NST_IJLi5ELi6ELi7EEEENST_IJLi8ELi9ELi10EEEEEEENST_IJLi5ELi6ELi7ELi8ELi9ELi10EEEElEEEEES36_NS_31BlockToCTileMap_M00_N00_M01_N01ILi128ELi128ES1Y_Lb0EEENS1_30ComputePtrOffsetOfStridedBatchILi1ELi1ELi1EvEELb0ELb1EEEvPKT0_S3E_T1_PT2_T3_T4_T5_iT6_T7_T8_T9_T10_T11_
; %bb.0:
	s_add_u32 flat_scratch_lo, s6, s9
	s_addc_u32 flat_scratch_hi, s7, 0
	s_add_u32 s0, s0, s9
	s_load_dword s6, s[4:5], 0x24
	s_load_dwordx8 s[44:51], s[4:5], 0x0
	s_load_dwordx4 s[28:31], s[4:5], 0x3c
	s_load_dword s82, s[4:5], 0x4c
	s_load_dwordx8 s[12:19], s[4:5], 0x54
	s_addc_u32 s1, s1, 0
	s_waitcnt lgkmcnt(0)
	s_abs_i32 s7, s6
	v_cvt_f32_u32_e32 v1, s7
	s_load_dwordx2 s[76:77], s[4:5], 0x88
	s_load_dwordx2 s[78:79], s[4:5], 0x98
	;; [unrolled: 1-line block ×3, first 2 shown]
	s_load_dword s9, s[4:5], 0x300
	s_load_dwordx8 s[36:43], s[4:5], 0xb8
	s_sub_i32 s10, 0, s7
	s_load_dwordx4 s[72:75], s[4:5], 0xd8
	s_load_dwordx8 s[20:27], s[4:5], 0xec
	v_rcp_iflag_f32_e32 v1, v1
	s_waitcnt lgkmcnt(0)
	s_xor_b32 s6, s9, s6
	s_abs_i32 s9, s9
	s_ashr_i32 s6, s6, 31
	v_mul_f32_e32 v1, 0x4f7ffffe, v1
	v_cvt_u32_f32_e32 v1, v1
	v_lshlrev_b32_e32 v2, 3, v0
	v_and_b32_e32 v25, 8, v2
	v_mov_b32_e32 v34, 0
	v_readfirstlane_b32 s11, v1
	s_mul_i32 s10, s10, s11
	s_mul_hi_u32 s10, s11, s10
	s_add_i32 s11, s11, s10
	s_mul_hi_u32 s10, s9, s11
	s_mul_i32 s11, s10, s7
	s_sub_i32 s9, s9, s11
	s_add_i32 s11, s10, 1
	s_sub_i32 s23, s9, s7
	s_cmp_ge_u32 s9, s7
	s_cselect_b32 s10, s11, s10
	s_cselect_b32 s9, s23, s9
	s_add_i32 s11, s10, 1
	s_cmp_ge_u32 s9, s7
	s_cselect_b32 s7, s11, s10
	s_xor_b32 s7, s7, s6
	s_sub_i32 s9, s7, s6
	s_abs_i32 s10, s9
	v_cvt_f32_u32_e32 v1, s10
	s_sub_i32 s27, 0, s10
	s_abs_i32 s11, s8
	s_xor_b32 s9, s8, s9
	v_rcp_iflag_f32_e32 v1, v1
	s_ashr_i32 s9, s9, 31
	s_load_dwordx4 s[68:71], s[4:5], 0x10c
	s_load_dword s6, s[4:5], 0x120
	s_load_dword s39, s[4:5], 0x12c
	;; [unrolled: 1-line block ×8, first 2 shown]
	s_load_dwordx2 s[34:35], s[4:5], 0x1d0
	s_load_dword s23, s[4:5], 0x1dc
	s_load_dwordx8 s[52:59], s[4:5], 0x2d8
	v_mul_f32_e32 v1, 0x4f7ffffe, v1
	v_cvt_u32_f32_e32 v1, v1
	s_waitcnt lgkmcnt(0)
	s_load_dword s71, s[4:5], 0x13c
	v_mul_lo_u32 v24, s43, v25
	s_movk_i32 s32, 0x7800
	v_readfirstlane_b32 s60, v1
	s_mul_i32 s27, s27, s60
	s_mul_hi_u32 s27, s60, s27
	s_add_i32 s60, s60, s27
	s_mul_hi_u32 s27, s11, s60
	s_mul_i32 s60, s27, s10
	s_sub_i32 s11, s11, s60
	s_add_i32 s60, s27, 1
	s_sub_i32 s61, s11, s10
	s_cmp_ge_u32 s11, s10
	s_cselect_b32 s27, s60, s27
	s_cselect_b32 s11, s61, s11
	s_add_i32 s60, s27, 1
	s_cmp_ge_u32 s11, s10
	s_cselect_b32 s10, s60, s27
	s_xor_b32 s10, s10, s9
	s_sub_i32 s9, s10, s9
	s_ashr_i32 s10, s9, 31
	s_mul_i32 s11, s52, s10
	s_mul_hi_u32 s27, s52, s9
	s_add_i32 s11, s27, s11
	s_mul_i32 s27, s53, s9
	s_add_i32 s11, s11, s27
	s_mul_i32 s27, s52, s9
	s_mul_i32 s52, s54, s10
	s_mul_hi_u32 s53, s54, s9
	s_add_i32 s52, s53, s52
	s_mul_i32 s53, s55, s9
	s_add_i32 s63, s52, s53
	s_mul_i32 s52, s58, s10
	s_mul_hi_u32 s53, s58, s9
	s_mul_i32 s10, s56, s10
	s_mul_hi_u32 s65, s56, s9
	s_add_i32 s60, s53, s52
	s_mul_i32 s61, s59, s9
	s_mul_i32 s83, s57, s9
	s_add_i32 s10, s65, s10
	s_mul_i32 s64, s54, s9
	s_mul_i32 s67, s58, s9
	;; [unrolled: 1-line block ×3, first 2 shown]
	s_add_i32 s84, s60, s61
	s_add_i32 s10, s10, s83
	s_add_u32 s48, s48, s9
	s_addc_u32 s49, s49, s10
	s_add_u32 s60, s44, s27
	s_load_dwordx4 s[52:55], s[4:5], 0x298
	s_load_dwordx4 s[56:59], s[4:5], 0x2ac
	s_addc_u32 s61, s45, s11
	s_add_u32 s64, s46, s64
	s_addc_u32 s65, s47, s63
	s_add_u32 s44, s50, s67
	s_addc_u32 s45, s51, s84
	s_load_dwordx4 s[84:87], s[4:5], 0x2c0
	s_load_dword s9, s[4:5], 0x27c
	s_load_dword s10, s[4:5], 0x28c
	s_waitcnt lgkmcnt(0)
	s_mul_hi_u32 s11, s59, s8
	s_add_i32 s11, s8, s11
	s_lshr_b32 s11, s11, s87
	s_mul_i32 s27, s11, s55
	s_sub_i32 s8, s8, s27
	s_mul_hi_u32 s27, s11, s58
	s_add_i32 s27, s11, s27
	s_lshr_b32 s27, s27, s86
	s_mul_i32 s46, s27, s54
	s_sub_i32 s11, s11, s46
	s_mul_hi_u32 s46, s27, s57
	v_mul_lo_u32 v27, s71, v25
	s_add_i32 s46, s27, s46
	v_mul_hi_u32 v2, v27, s26
	s_lshr_b32 s46, s46, s85
	v_add_u32_e32 v2, v27, v2
	s_mul_i32 s47, s46, s53
	v_lshrrev_b32_e32 v2, s70, v2
	s_sub_i32 s27, s27, s47
	s_mul_hi_u32 s47, s46, s56
	v_mul_lo_u32 v3, v2, s22
	s_add_i32 s47, s46, s47
	v_sub_u32_e32 v8, v27, v3
	v_mul_hi_u32 v3, v2, s25
	s_lshr_b32 s47, s47, s84
	v_add_u32_e32 v3, v2, v3
	s_mul_i32 s47, s47, s52
	v_lshrrev_b32_e32 v3, s69, v3
	s_sub_i32 s46, s46, s47
	v_mul_lo_u32 v4, v3, s21
	s_mul_i32 s46, s46, s9
	v_sub_u32_e32 v12, v2, v4
	v_mul_hi_u32 v2, v3, s24
	s_mul_i32 s27, s27, s10
	s_add_i32 s11, s11, s46
	v_add_u32_e32 v2, v3, v2
	s_add_i32 s8, s8, s27
	v_lshrrev_b32_e32 v1, 1, v0
	s_lshl_b32 s27, s11, 7
	v_lshrrev_b32_e32 v13, s68, v2
	v_or_b32_e32 v26, s27, v1
	v_mul_lo_u32 v2, v13, s20
	v_sub_u32_e32 v14, v3, v2
	v_mul_hi_u32 v2, v26, s42
	v_add_u32_e32 v2, v26, v2
	v_lshrrev_b32_e32 v2, s74, v2
	v_mul_hi_u32 v4, v2, s41
	v_add_u32_e32 v4, v2, v4
	v_lshrrev_b32_e32 v4, s73, v4
	v_mul_lo_u32 v5, v4, s37
	v_mul_lo_u32 v3, v2, s38
	v_sub_u32_e32 v5, v2, v5
	v_mul_hi_u32 v2, v4, s40
	v_add_u32_e32 v2, v4, v2
	v_lshrrev_b32_e32 v9, s72, v2
	v_mul_lo_u32 v2, v9, s36
	v_sub_u32_e32 v3, v26, v3
	v_sub_u32_e32 v7, v4, v2
	v_mul_lo_u32 v2, v12, s80
	v_mul_lo_u32 v4, v14, s78
	v_mad_u64_u32 v[2:3], s[10:11], v3, s81, v[2:3]
	v_mad_u64_u32 v[4:5], s[10:11], v5, s79, v[4:5]
	v_mul_lo_u32 v6, v13, s76
	v_mad_u64_u32 v[6:7], s[10:11], v7, s77, v[6:7]
	v_subrev_u32_e32 v3, s19, v2
	v_subrev_u32_e32 v5, s16, v4
	;; [unrolled: 1-line block ×3, first 2 shown]
	v_mul_lo_u32 v5, v5, s30
	v_mul_lo_u32 v3, v3, s31
	;; [unrolled: 1-line block ×5, first 2 shown]
	v_add3_u32 v3, v3, v10, v5
	v_add3_u32 v3, v3, v9, v7
	v_lshrrev_b32_e32 v5, 5, v0
	v_lshlrev_b32_e32 v9, 1, v0
	v_lshlrev_b32_e32 v7, 6, v5
	v_and_b32_e32 v10, 0x1f8, v9
	v_sub_u32_e32 v7, v10, v7
	v_lshlrev_b32_e32 v0, 2, v0
	v_and_or_b32 v35, v0, 4, v7
	v_and_b32_e32 v0, 0x1fc, v9
	v_sub_u32_e32 v0, v0, v10
	v_lshl_add_u32 v36, v5, 3, v0
	v_lshlrev_b32_e32 v0, 2, v36
	buffer_store_dword v34, off, s[0:3], 0 offset:64
	buffer_store_dword v36, off, s[0:3], 0 offset:68
	;; [unrolled: 1-line block ×12, first 2 shown]
	v_lshlrev_b32_e32 v0, 2, v35
	s_mov_b64 s[10:11], src_shared_base
	buffer_store_dword v0, off, s[0:3], 0 offset:112
	buffer_store_dword v34, off, s[0:3], 0 offset:116
	;; [unrolled: 1-line block ×72, first 2 shown]
	v_mov_b32_e32 v0, s11
	v_mov_b32_e32 v5, 0x4000
	buffer_store_dword v0, off, s[0:3], 0 offset:404
	buffer_store_dword v34, off, s[0:3], 0 offset:400
	buffer_store_byte v34, off, s[0:3], 0 offset:409
	buffer_store_dword v0, off, s[0:3], 0 offset:420
	buffer_store_dword v5, off, s[0:3], 0 offset:416
	buffer_store_byte v34, off, s[0:3], 0 offset:425
	buffer_store_dword v0, off, s[0:3], 0 offset:436
	v_mov_b32_e32 v5, 0x2000
	buffer_store_dword v5, off, s[0:3], 0 offset:432
	buffer_store_byte v34, off, s[0:3], 0 offset:441
	buffer_store_dword v0, off, s[0:3], 0 offset:452
	v_mov_b32_e32 v0, 0x6000
	s_lshl_b32 s42, s71, 2
	buffer_store_dword v0, off, s[0:3], 0 offset:448
	buffer_store_byte v34, off, s[0:3], 0 offset:457
	v_add_u32_e32 v0, s42, v27
	v_mul_hi_u32 v5, v0, s26
	v_add_u32_e32 v5, v0, v5
	v_lshrrev_b32_e32 v5, s70, v5
	v_mul_lo_u32 v7, v5, s22
	v_sub_u32_e32 v7, v0, v7
	v_sub_u32_e32 v15, v7, v8
	v_mul_hi_u32 v8, v5, s25
	v_add_u32_e32 v16, v5, v8
	v_lshrrev_b32_e32 v16, s69, v16
	v_mul_lo_u32 v17, v16, s21
	v_sub_u32_e32 v5, v5, v17
	v_mul_hi_u32 v17, v16, s24
	s_mov_b32 s63, 0x20000
	v_add_u32_e32 v17, v16, v17
	buffer_load_dwordx4 v[8:11], v3, s[60:63], 0 offen
	v_lshrrev_b32_e32 v28, s68, v17
	v_mul_lo_u32 v17, v28, s20
	v_sub_u32_e32 v12, v5, v12
	v_sub_u32_e32 v29, v16, v17
	;; [unrolled: 1-line block ×4, first 2 shown]
	v_mul_lo_u32 v30, v12, s80
	v_mul_lo_u32 v32, v13, s76
	;; [unrolled: 1-line block ×7, first 2 shown]
	v_add3_u32 v12, v14, v15, v12
	v_add3_u32 v3, v12, v13, v3
	s_lshl_b32 s28, s8, 7
	buffer_load_dwordx4 v[12:15], v3, s[60:63], 0 offen
	v_or_b32_e32 v33, s28, v1
	v_mad_u64_u32 v[20:21], s[8:9], v33, s7, v[24:25]
	s_mov_b32 s67, s63
	buffer_load_dwordx4 v[16:19], v20, s[64:67], 0 offen
	s_lshl_b32 s37, s43, 2
	v_add_u32_e32 v38, s37, v20
	buffer_load_dwordx4 v[20:23], v38, s[64:67], 0 offen
	s_load_dword s10, s[4:5], 0x74
	v_cmp_le_i32_e64 s[8:9], s19, v2
	v_cmp_gt_i32_e32 vcc, s39, v27
	s_sub_i32 s40, s15, s17
	s_sub_i32 s38, s12, s14
	s_waitcnt lgkmcnt(0)
	s_sub_i32 s41, s18, s10
	v_cmp_gt_i32_e64 s[10:11], s41, v2
	s_and_b64 s[8:9], s[8:9], s[10:11]
	s_and_b64 s[10:11], vcc, s[8:9]
	v_cmp_le_i32_e32 vcc, s16, v4
	v_cmp_gt_i32_e64 s[8:9], s40, v4
	s_and_b64 s[8:9], vcc, s[8:9]
	s_and_b64 s[10:11], s[10:11], s[8:9]
	v_cmp_le_i32_e32 vcc, s13, v6
	v_cmp_gt_i32_e64 s[8:9], s38, v6
	s_and_b64 s[8:9], vcc, s[8:9]
	v_cmp_gt_i32_e64 s[6:7], s6, v26
	s_and_b64 s[8:9], s[10:11], s[8:9]
	v_add_u32_e32 v39, v2, v30
	v_lshlrev_b32_e32 v1, 2, v1
	s_and_b64 vcc, s[6:7], s[8:9]
	v_cmp_le_i32_e64 s[8:9], s19, v39
	v_cmp_gt_i32_e64 s[10:11], s41, v39
	v_lshl_or_b32 v37, v25, 9, v1
	v_add_u32_e32 v40, v4, v31
	s_and_b64 s[8:9], s[8:9], s[10:11]
	v_add_u32_e32 v41, v6, v32
	s_mov_b32 s36, 0x3020104
	v_add_u32_e32 v42, s37, v24
	s_mul_i32 s43, s43, 12
	s_waitcnt vmcnt(3)
	v_cndmask_b32_e32 v1, 0, v11, vcc
	v_cndmask_b32_e32 v10, 0, v10, vcc
	;; [unrolled: 1-line block ×4, first 2 shown]
	v_cmp_gt_i32_e32 vcc, s39, v0
	s_and_b64 s[10:11], vcc, s[8:9]
	v_cmp_le_i32_e32 vcc, s16, v40
	v_cmp_gt_i32_e64 s[8:9], s40, v40
	s_and_b64 s[8:9], vcc, s[8:9]
	s_and_b64 s[10:11], s[10:11], s[8:9]
	v_cmp_le_i32_e32 vcc, s13, v41
	v_cmp_gt_i32_e64 s[8:9], s38, v41
	s_and_b64 s[8:9], vcc, s[8:9]
	s_and_b64 s[8:9], s[10:11], s[8:9]
	s_and_b64 vcc, s[6:7], s[8:9]
	v_perm_b32 v8, v8, v8, s36
	v_cmp_gt_i32_e64 s[8:9], s33, v24
	s_waitcnt vmcnt(2)
	v_cndmask_b32_e32 v2, 0, v15, vcc
	v_cndmask_b32_e32 v4, 0, v14, vcc
	;; [unrolled: 1-line block ×4, first 2 shown]
	v_cmp_gt_i32_e32 vcc, s75, v33
	ds_write2st64_b32 v37, v8, v9 offset1:2
	v_perm_b32 v8, v10, v10, s36
	s_and_b64 s[8:9], s[8:9], vcc
	ds_write2st64_b32 v37, v8, v1 offset0:4 offset1:6
	v_perm_b32 v1, v11, v11, s36
	s_waitcnt vmcnt(1)
	v_cndmask_b32_e64 v12, 0, v19, s[8:9]
	v_cndmask_b32_e64 v13, 0, v18, s[8:9]
	;; [unrolled: 1-line block ×4, first 2 shown]
	v_cmp_gt_i32_e64 s[8:9], s33, v42
	ds_write2st64_b32 v37, v1, v6 offset0:8 offset1:10
	v_perm_b32 v1, v4, v4, s36
	s_and_b64 s[8:9], s[8:9], vcc
	ds_write2st64_b32 v37, v1, v2 offset0:12 offset1:14
	v_perm_b32 v1, v15, v15, s36
	s_waitcnt vmcnt(0)
	v_cndmask_b32_e64 v19, 0, v20, s[8:9]
	ds_write2st64_b32 v37, v1, v14 offset0:64 offset1:66
	v_perm_b32 v1, v13, v13, s36
	v_cndmask_b32_e64 v17, 0, v22, s[8:9]
	v_cndmask_b32_e64 v18, 0, v21, s[8:9]
	ds_write2st64_b32 v37, v1, v12 offset0:68 offset1:70
	v_perm_b32 v1, v19, v19, s36
	v_cndmask_b32_e64 v16, 0, v23, s[8:9]
	ds_write2st64_b32 v37, v1, v18 offset0:72 offset1:74
	v_perm_b32 v1, v17, v17, s36
	ds_write2st64_b32 v37, v1, v16 offset0:76 offset1:78
	s_waitcnt lgkmcnt(0)
	s_barrier
	buffer_load_dword v22, off, s[0:3], 0 offset:80
	buffer_load_dword v26, off, s[0:3], 0 offset:112
	;; [unrolled: 1-line block ×4, first 2 shown]
	v_mad_u64_u32 v[0:1], s[8:9], s71, 12, v[0:1]
	v_mul_hi_u32 v1, v0, s26
	v_add_u32_e32 v1, v0, v1
	v_lshrrev_b32_e32 v1, s70, v1
	v_mul_hi_u32 v4, v1, s25
	v_add_u32_e32 v4, v1, v4
	v_lshrrev_b32_e32 v6, s69, v4
	v_mul_lo_u32 v4, v6, s21
	v_sub_u32_e32 v4, v1, v4
	v_mul_lo_u32 v2, v1, s22
	v_sub_u32_e32 v1, v4, v5
	v_mul_hi_u32 v5, v6, s24
	v_add_u32_e32 v5, v6, v5
	v_lshrrev_b32_e32 v5, s68, v5
	v_mul_lo_u32 v8, v5, s20
	v_sub_u32_e32 v2, v0, v2
	v_sub_u32_e32 v6, v6, v8
	;; [unrolled: 1-line block ×5, first 2 shown]
	v_mul_lo_u32 v1, v1, s80
	v_mul_lo_u32 v44, v9, s76
	;; [unrolled: 1-line block ×7, first 2 shown]
	v_add3_u32 v7, v10, v7, v8
	v_add_u32_e32 v18, s43, v38
	v_add_u32_e32 v38, s42, v0
	v_add3_u32 v7, v7, v9, v3
	v_mul_hi_u32 v3, v38, s26
	v_add_u32_e32 v3, v38, v3
	v_lshrrev_b32_e32 v8, s70, v3
	v_mad_u64_u32 v[2:3], s[8:9], v8, s22, v[2:3]
	v_sub_u32_e32 v9, v38, v2
	v_mul_hi_u32 v2, v8, s25
	v_add_u32_e32 v2, v8, v2
	v_lshrrev_b32_e32 v10, s69, v2
	v_mad_u64_u32 v[2:3], s[8:9], v10, s21, v[4:5]
	v_sub_u32_e32 v4, v8, v2
	v_mul_hi_u32 v2, v10, s24
	v_add_u32_e32 v2, v10, v2
	v_lshrrev_b32_e32 v8, s68, v2
	v_mad_u64_u32 v[2:3], s[8:9], v8, s20, v[6:7]
	v_sub_u32_e32 v3, v8, v5
	v_sub_u32_e32 v2, v10, v2
	v_mul_lo_u32 v45, v4, s80
	v_mul_lo_u32 v47, v3, s76
	;; [unrolled: 1-line block ×7, first 2 shown]
	v_add3_u32 v2, v4, v5, v2
	v_add3_u32 v6, v2, v3, v7
	buffer_load_dwordx4 v[2:5], v7, s[60:63], 0 offen
	s_nop 0
	buffer_load_dwordx4 v[6:9], v6, s[60:63], 0 offen
	v_add_u32_e32 v19, s37, v18
	buffer_load_dwordx4 v[10:13], v18, s[64:67], 0 offen
	buffer_load_dwordx4 v[14:17], v19, s[64:67], 0 offen
	s_nop 0
	buffer_store_dword v34, off, s[0:3], 0 offset:16
	buffer_store_dword v34, off, s[0:3], 0 offset:20
	buffer_store_dword v34, off, s[0:3], 0 offset:24
	buffer_store_dword v34, off, s[0:3], 0 offset:28
	buffer_store_dword v34, off, s[0:3], 0 offset:32
	buffer_store_dword v34, off, s[0:3], 0 offset:36
	buffer_store_dword v34, off, s[0:3], 0 offset:40
	buffer_store_dword v34, off, s[0:3], 0 offset:44
	buffer_store_dword v34, off, s[0:3], 0 offset:48
	buffer_load_dword v48, off, s[0:3], 0 offset:148
	buffer_load_dword v49, off, s[0:3], 0 offset:152
	;; [unrolled: 1-line block ×4, first 2 shown]
	v_add_u32_e32 v1, v39, v1
	v_cmp_gt_i32_e64 s[10:11], s41, v1
	v_add_u32_e32 v39, v40, v43
	v_add_u32_e32 v40, v41, v44
	;; [unrolled: 1-line block ×3, first 2 shown]
	s_mov_b64 s[20:21], src_private_base
	s_waitcnt vmcnt(20)
	ds_read_b128 v[18:21], v22
	buffer_store_dword v34, off, s[0:3], 0 offset:52
	buffer_store_dword v34, off, s[0:3], 0 offset:56
	;; [unrolled: 1-line block ×3, first 2 shown]
	s_waitcnt vmcnt(22)
	v_ashrrev_i32_e32 v28, 31, v26
	s_waitcnt vmcnt(21)
	v_add_co_u32_e64 v30, s[8:9], v27, v26
	ds_read_b128 v[22:25], v22 offset:256
	s_waitcnt lgkmcnt(1)
	buffer_store_dword v18, off, s[0:3], 0
	buffer_store_dword v19, off, s[0:3], 0 offset:4
	buffer_store_dword v20, off, s[0:3], 0 offset:8
	;; [unrolled: 1-line block ×3, first 2 shown]
	s_waitcnt vmcnt(24)
	v_addc_co_u32_e64 v31, s[8:9], v31, v28, s[8:9]
	flat_load_dwordx4 v[26:29], v[30:31]
	v_cmp_le_i32_e64 s[8:9], s19, v1
	buffer_load_dword v52, off, s[0:3], 0 offset:188
	buffer_load_dword v53, off, s[0:3], 0 offset:144
	s_load_dword s18, s[4:5], 0x1e8
	s_load_dword s50, s[4:5], 0x210
	s_load_dwordx2 s[14:15], s[4:5], 0x220
	s_load_dword s12, s[4:5], 0x22c
	s_load_dword s17, s[4:5], 0x238
	;; [unrolled: 1-line block ×3, first 2 shown]
	v_cmp_gt_i32_e64 s[4:5], s39, v0
	s_and_b64 s[8:9], s[8:9], s[10:11]
	s_and_b64 s[10:11], s[4:5], s[8:9]
	v_cmp_le_i32_e64 s[4:5], s16, v39
	v_cmp_gt_i32_e64 s[8:9], s40, v39
	s_and_b64 s[4:5], s[4:5], s[8:9]
	s_and_b64 s[10:11], s[10:11], s[4:5]
	v_cmp_le_i32_e64 s[4:5], s13, v40
	v_cmp_gt_i32_e64 s[8:9], s38, v40
	s_and_b64 s[4:5], s[4:5], s[8:9]
	s_and_b64 s[4:5], s[10:11], s[4:5]
	v_add_u32_e32 v0, v1, v45
	s_and_b64 s[4:5], s[6:7], s[4:5]
	v_cmp_le_i32_e64 s[8:9], s19, v0
	v_cmp_gt_i32_e64 s[10:11], s41, v0
	s_and_b64 s[8:9], s[8:9], s[10:11]
	buffer_load_dword v54, off, s[0:3], 0 offset:176
	buffer_load_dword v55, off, s[0:3], 0 offset:180
	;; [unrolled: 1-line block ×3, first 2 shown]
	s_waitcnt vmcnt(0) lgkmcnt(0)
	buffer_store_dword v26, off, s[0:3], 0 offset:32
	buffer_store_dword v27, off, s[0:3], 0 offset:36
	;; [unrolled: 1-line block ×4, first 2 shown]
	v_cndmask_b32_e64 v42, 0, v5, s[4:5]
	v_cndmask_b32_e64 v43, 0, v4, s[4:5]
	;; [unrolled: 1-line block ×4, first 2 shown]
	v_add_u32_e32 v2, v39, v46
	v_cmp_gt_i32_e64 s[4:5], s39, v38
	s_and_b64 s[10:11], s[4:5], s[8:9]
	v_cmp_le_i32_e64 s[4:5], s16, v2
	v_cmp_gt_i32_e64 s[8:9], s40, v2
	v_add_u32_e32 v4, v40, v47
	s_and_b64 s[4:5], s[4:5], s[8:9]
	s_and_b64 s[10:11], s[10:11], s[4:5]
	v_cmp_le_i32_e64 s[4:5], s13, v4
	v_cmp_gt_i32_e64 s[8:9], s38, v4
	s_and_b64 s[4:5], s[4:5], s[8:9]
	s_and_b64 s[4:5], s[10:11], s[4:5]
	;; [unrolled: 1-line block ×3, first 2 shown]
	v_cndmask_b32_e64 v61, 0, v9, s[4:5]
	v_cndmask_b32_e64 v62, 0, v8, s[4:5]
	;; [unrolled: 1-line block ×4, first 2 shown]
	v_cmp_gt_i32_e64 s[4:5], s33, v41
	flat_load_dwordx4 v[30:33], v[30:31] offset:256
	s_and_b64 s[4:5], s[4:5], vcc
	buffer_load_dword v1, off, s[0:3], 0 offset:208
	buffer_load_dword v3, off, s[0:3], 0 offset:212
	;; [unrolled: 1-line block ×21, first 2 shown]
	v_cndmask_b32_e64 v67, 0, v13, s[4:5]
	buffer_load_dword v13, off, s[0:3], 0 offset:264
	v_cndmask_b32_e64 v68, 0, v12, s[4:5]
	buffer_load_dword v12, off, s[0:3], 0 offset:268
	v_cndmask_b32_e64 v70, 0, v10, s[4:5]
	v_add_u32_e32 v10, s37, v41
	v_cndmask_b32_e64 v69, 0, v11, s[4:5]
	v_cmp_gt_i32_e64 s[4:5], s33, v10
	s_and_b64 vcc, s[4:5], vcc
	s_waitcnt vmcnt(0) lgkmcnt(0)
	buffer_store_dword v30, off, s[0:3], 0 offset:48
	buffer_store_dword v31, off, s[0:3], 0 offset:52
	;; [unrolled: 1-line block ×8, first 2 shown]
	v_dot4c_i32_i8_e32 v53, v18, v26
	v_dot4c_i32_i8_e32 v1, v20, v26
	;; [unrolled: 1-line block ×14, first 2 shown]
	buffer_store_dword v1, off, s[0:3], 0 offset:208
	v_dot4c_i32_i8_e32 v9, v20, v30
	v_dot4c_i32_i8_e32 v8, v20, v31
	;; [unrolled: 1-line block ×4, first 2 shown]
	buffer_store_dword v3, off, s[0:3], 0 offset:212
	buffer_store_dword v5, off, s[0:3], 0 offset:216
	v_dot4c_i32_i8_e32 v38, v20, v29
	v_dot4c_i32_i8_e32 v39, v21, v26
	buffer_store_dword v0, off, s[0:3], 0 offset:244
	v_dot4c_i32_i8_e32 v40, v21, v28
	v_dot4c_i32_i8_e32 v45, v21, v29
	;; [unrolled: 1-line block ×3, first 2 shown]
	buffer_store_dword v2, off, s[0:3], 0 offset:164
	v_dot4c_i32_i8_e32 v46, v18, v32
	v_dot4c_i32_i8_e32 v47, v18, v33
	buffer_store_dword v4, off, s[0:3], 0 offset:192
	v_dot4c_i32_i8_e32 v58, v19, v31
	v_dot4c_i32_i8_e32 v59, v19, v32
	;; [unrolled: 1-line block ×3, first 2 shown]
	buffer_store_dword v9, off, s[0:3], 0 offset:224
	buffer_store_dword v8, off, s[0:3], 0 offset:228
	;; [unrolled: 1-line block ×4, first 2 shown]
	v_dot4c_i32_i8_e32 v65, v21, v30
	v_dot4c_i32_i8_e32 v66, v21, v31
	;; [unrolled: 1-line block ×4, first 2 shown]
	v_mov_b32_e32 v0, 64
	v_mov_b32_e32 v1, s21
	v_mov_b32_e32 v2, 0x190
	v_mov_b32_e32 v3, s21
	v_mov_b32_e32 v4, 0
	v_mov_b32_e32 v5, s21
	v_mov_b32_e32 v6, 32
	v_mov_b32_e32 v7, s21
	v_mov_b32_e32 v8, 0x90
	v_mov_b32_e32 v9, s21
	v_mov_b32_e32 v10, 0x1a0
	v_mov_b32_e32 v11, s21
	v_cndmask_b32_e32 v41, 0, v17, vcc
	v_cndmask_b32_e32 v71, 0, v16, vcc
	;; [unrolled: 1-line block ×4, first 2 shown]
	buffer_store_dword v53, off, s[0:3], 0 offset:144
	buffer_store_dword v48, off, s[0:3], 0 offset:148
	;; [unrolled: 1-line block ×22, first 2 shown]
	s_getpc_b64 s[6:7]
	s_add_u32 s6, s6, _ZNK2ck6detail15static_for_implINS_8SequenceIJLi1ELi2ELi3ELi4ELi5ELi6ELi7ELi8ELi9ELi10ELi11ELi12ELi13ELi14ELi15EEEEEclIZNKS_80BlockwiseGemmDl_A_BK0_BM_BK1_B_BK0_BN_BK1_C_BM0_BM1_BN0_BN1_pipeline_BM0_2_BN0_2ILi256EaaiKNS_16TensorDescriptorINS_5TupleIJNS_5EmbedINS8_IJNS_17integral_constantIiLi16EEENSA_IiLi128EEENSA_IiLi4EEEEEENS8_IJNSA_IiLi512EEESD_NSA_IiLi1EEEEEELb0EEEEEENS8_IJNS2_IJLi0EEEEEEENS8_IJNS2_IJLi1ELi2ELi3EEEEEEESM_NSA_IlLl8192EEEEESQ_Li4ELi4ELi1ENS2_IJLi8ELi2EEEESR_Li4ELi4ELb0EE3RunINS7_INS8_IJNS_7UnMergeINS8_IJNSA_IiLi2EEESD_SV_SD_EEELb0EEEEEESL_NS8_IJNS2_IJLi1ELi2ELi3ELi4EEEEEEESZ_NSA_IlLl64EEEEENS_13DynamicBufferILNS_16AddressSpaceEnumE2EaSO_Lb1ELNS_22AmdBufferCoherenceEnumE0EiEES16_NS_12StaticBufferILS14_4EiLi64ELb1EEEEEvRKT_RKT0_RKT1_RT2_EUlS19_E_EEvS19_@rel32@lo+4
	s_addc_u32 s7, s7, _ZNK2ck6detail15static_for_implINS_8SequenceIJLi1ELi2ELi3ELi4ELi5ELi6ELi7ELi8ELi9ELi10ELi11ELi12ELi13ELi14ELi15EEEEEclIZNKS_80BlockwiseGemmDl_A_BK0_BM_BK1_B_BK0_BN_BK1_C_BM0_BM1_BN0_BN1_pipeline_BM0_2_BN0_2ILi256EaaiKNS_16TensorDescriptorINS_5TupleIJNS_5EmbedINS8_IJNS_17integral_constantIiLi16EEENSA_IiLi128EEENSA_IiLi4EEEEEENS8_IJNSA_IiLi512EEESD_NSA_IiLi1EEEEEELb0EEEEEENS8_IJNS2_IJLi0EEEEEEENS8_IJNS2_IJLi1ELi2ELi3EEEEEEESM_NSA_IlLl8192EEEEESQ_Li4ELi4ELi1ENS2_IJLi8ELi2EEEESR_Li4ELi4ELb0EE3RunINS7_INS8_IJNS_7UnMergeINS8_IJNSA_IiLi2EEESD_SV_SD_EEELb0EEEEEESL_NS8_IJNS2_IJLi1ELi2ELi3ELi4EEEEEEESZ_NSA_IlLl64EEEEENS_13DynamicBufferILNS_16AddressSpaceEnumE2EaSO_Lb1ELNS_22AmdBufferCoherenceEnumE0EiEES16_NS_12StaticBufferILS14_4EiLi64ELb1EEEEEvRKT_RKT0_RKT1_RT2_EUlS19_E_EEvS19_@rel32@hi+12
	s_swappc_b64 s[30:31], s[6:7]
	buffer_load_dword v0, off, s[0:3], 0 offset:32
	buffer_load_dword v1, off, s[0:3], 0 offset:36
	;; [unrolled: 1-line block ×46, first 2 shown]
	s_waitcnt vmcnt(39)
	v_dot4c_i32_i8_e32 v6, v4, v0
	s_waitcnt vmcnt(38)
	v_dot4c_i32_i8_e32 v7, v4, v1
	;; [unrolled: 2-line block ×15, first 2 shown]
	v_perm_b32 v2, v57, v57, s36
	s_waitcnt vmcnt(22)
	v_dot4c_i32_i8_e32 v23, v19, v3
	v_perm_b32 v3, v68, v68, s36
	s_waitcnt vmcnt(17)
	v_dot4c_i32_i8_e32 v28, v4, v24
	s_waitcnt vmcnt(16)
	v_dot4c_i32_i8_e32 v29, v4, v27
	;; [unrolled: 2-line block ×16, first 2 shown]
	buffer_store_dword v6, off, s[0:3], 0 offset:272
	buffer_store_dword v7, off, s[0:3], 0 offset:276
	buffer_store_dword v8, off, s[0:3], 0 offset:280
	buffer_store_dword v9, off, s[0:3], 0 offset:284
	buffer_store_dword v10, off, s[0:3], 0 offset:304
	buffer_store_dword v11, off, s[0:3], 0 offset:308
	buffer_store_dword v12, off, s[0:3], 0 offset:312
	buffer_store_dword v13, off, s[0:3], 0 offset:316
	buffer_store_dword v15, off, s[0:3], 0 offset:336
	buffer_store_dword v16, off, s[0:3], 0 offset:340
	buffer_store_dword v17, off, s[0:3], 0 offset:344
	buffer_store_dword v18, off, s[0:3], 0 offset:348
	buffer_store_dword v20, off, s[0:3], 0 offset:368
	buffer_store_dword v21, off, s[0:3], 0 offset:372
	buffer_store_dword v22, off, s[0:3], 0 offset:376
	buffer_store_dword v23, off, s[0:3], 0 offset:380
	buffer_store_dword v28, off, s[0:3], 0 offset:288
	buffer_store_dword v29, off, s[0:3], 0 offset:292
	s_waitcnt vmcnt(18)
	v_add_co_u32_e32 v0, vcc, v53, v37
	v_addc_co_u32_e32 v1, vcc, 0, v52, vcc
	buffer_store_dword v30, off, s[0:3], 0 offset:296
	buffer_store_dword v31, off, s[0:3], 0 offset:300
	;; [unrolled: 1-line block ×14, first 2 shown]
	flat_store_dword v[0:1], v2
	flat_store_dword v[0:1], v44 offset:512
	v_perm_b32 v2, v43, v43, s36
	flat_store_dword v[0:1], v2 offset:1024
	flat_store_dword v[0:1], v42 offset:1536
	v_perm_b32 v2, v64, v64, s36
	flat_store_dword v[0:1], v2 offset:2048
	;; [unrolled: 3-line block ×3, first 2 shown]
	flat_store_dword v[0:1], v61 offset:3584
	buffer_load_dword v4, off, s[0:3], 0 offset:448
	buffer_load_dword v5, off, s[0:3], 0 offset:452
	v_perm_b32 v2, v70, v70, s36
	v_perm_b32 v6, v73, v73, s36
	;; [unrolled: 1-line block ×3, first 2 shown]
	s_waitcnt vmcnt(0)
	v_add_co_u32_e32 v0, vcc, v4, v37
	v_addc_co_u32_e32 v1, vcc, 0, v5, vcc
	flat_store_dword v[0:1], v2
	flat_store_dword v[0:1], v69 offset:512
	flat_store_dword v[0:1], v3 offset:1024
	;; [unrolled: 1-line block ×7, first 2 shown]
	s_waitcnt lgkmcnt(0)
	s_barrier
	buffer_load_dword v0, off, s[0:3], 0 offset:80
	s_nop 0
	buffer_store_dword v34, off, s[0:3], 0
	buffer_store_dword v34, off, s[0:3], 0 offset:4
	buffer_store_dword v34, off, s[0:3], 0 offset:8
	;; [unrolled: 1-line block ×15, first 2 shown]
	buffer_load_dword v6, off, s[0:3], 0 offset:112
	buffer_load_dword v16, off, s[0:3], 0 offset:160
	;; [unrolled: 1-line block ×5, first 2 shown]
	s_waitcnt vmcnt(0)
	v_ashrrev_i32_e32 v7, 31, v6
	v_ashrrev_i32_e32 v1, 31, v0
	v_add_co_u32_e32 v12, vcc, v53, v0
	v_addc_co_u32_e32 v13, vcc, v52, v1, vcc
	flat_load_dwordx4 v[0:3], v[12:13]
	v_add_co_u32_e32 v8, vcc, v4, v6
	buffer_load_dword v20, off, s[0:3], 0 offset:192
	buffer_load_dword v21, off, s[0:3], 0 offset:196
	;; [unrolled: 1-line block ×3, first 2 shown]
	v_addc_co_u32_e32 v9, vcc, v5, v7, vcc
	s_waitcnt vmcnt(0) lgkmcnt(0)
	buffer_store_dword v0, off, s[0:3], 0
	buffer_store_dword v1, off, s[0:3], 0 offset:4
	buffer_store_dword v2, off, s[0:3], 0 offset:8
	;; [unrolled: 1-line block ×3, first 2 shown]
	flat_load_dwordx4 v[4:7], v[8:9]
	s_waitcnt vmcnt(0) lgkmcnt(0)
	buffer_store_dword v4, off, s[0:3], 0 offset:32
	buffer_store_dword v5, off, s[0:3], 0 offset:36
	;; [unrolled: 1-line block ×4, first 2 shown]
	flat_load_dwordx4 v[8:11], v[8:9] offset:256
	s_nop 0
	buffer_load_dword v23, off, s[0:3], 0 offset:144
	buffer_load_dword v24, off, s[0:3], 0 offset:148
	;; [unrolled: 1-line block ×25, first 2 shown]
	v_dot4c_i32_i8_e32 v19, v0, v7
	v_dot4c_i32_i8_e32 v22, v1, v7
	s_waitcnt vmcnt(0) lgkmcnt(0)
	buffer_store_dword v8, off, s[0:3], 0 offset:48
	buffer_store_dword v9, off, s[0:3], 0 offset:52
	buffer_store_dword v10, off, s[0:3], 0 offset:56
	buffer_store_dword v11, off, s[0:3], 0 offset:60
	flat_load_dwordx4 v[12:15], v[12:13] offset:256
	v_dot4c_i32_i8_e32 v23, v0, v4
	v_dot4c_i32_i8_e32 v24, v0, v5
	;; [unrolled: 1-line block ×30, first 2 shown]
	v_mov_b32_e32 v0, 64
	v_mov_b32_e32 v1, s21
	;; [unrolled: 1-line block ×12, first 2 shown]
	buffer_store_dword v23, off, s[0:3], 0 offset:144
	buffer_store_dword v24, off, s[0:3], 0 offset:148
	;; [unrolled: 1-line block ×32, first 2 shown]
	s_waitcnt vmcnt(0) lgkmcnt(0)
	buffer_store_dword v12, off, s[0:3], 0 offset:16
	buffer_store_dword v13, off, s[0:3], 0 offset:20
	;; [unrolled: 1-line block ×4, first 2 shown]
	s_swappc_b64 s[30:31], s[6:7]
	buffer_load_dword v19, off, s[0:3], 0 offset:32
	buffer_load_dword v33, off, s[0:3], 0 offset:36
	;; [unrolled: 1-line block ×57, first 2 shown]
	s_mov_b32 s51, s63
	s_lshl_b32 s10, s35, 6
	s_lshl_b32 s8, s35, 7
	s_add_i32 s9, s10, s34
	s_sub_i32 s11, s9, s8
	s_mov_b32 s47, s63
	s_lshl_b32 s13, s14, 6
	s_waitcnt vmcnt(50)
	v_dot4c_i32_i8_e32 v25, v39, v19
	s_waitcnt vmcnt(49)
	v_dot4c_i32_i8_e32 v24, v39, v33
	s_waitcnt vmcnt(48)
	v_dot4c_i32_i8_e32 v26, v39, v37
	s_waitcnt vmcnt(47)
	v_dot4c_i32_i8_e32 v27, v39, v38
	s_waitcnt vmcnt(46)
	v_dot4c_i32_i8_e32 v13, v40, v19
	s_waitcnt vmcnt(45)
	v_dot4c_i32_i8_e32 v12, v40, v33
	s_waitcnt vmcnt(44)
	v_dot4c_i32_i8_e32 v18, v40, v37
	s_waitcnt vmcnt(43)
	v_dot4c_i32_i8_e32 v20, v40, v38
	s_waitcnt vmcnt(41)
	v_dot4c_i32_i8_e32 v8, v41, v19
	s_waitcnt vmcnt(40)
	v_dot4c_i32_i8_e32 v9, v41, v33
	s_waitcnt vmcnt(39)
	v_dot4c_i32_i8_e32 v10, v41, v37
	s_waitcnt vmcnt(38)
	v_dot4c_i32_i8_e32 v11, v41, v38
	buffer_store_dword v25, off, s[0:3], 0 offset:272
	buffer_store_dword v24, off, s[0:3], 0 offset:276
	;; [unrolled: 1-line block ×12, first 2 shown]
	s_waitcnt vmcnt(48)
	v_dot4c_i32_i8_e32 v0, v42, v19
	s_waitcnt vmcnt(47)
	v_dot4c_i32_i8_e32 v1, v42, v33
	v_add_u32_e32 v33, s28, v35
	v_add_u32_e32 v35, s27, v36
	s_waitcnt vmcnt(46)
	v_dot4c_i32_i8_e32 v2, v42, v37
	s_waitcnt vmcnt(45)
	v_dot4c_i32_i8_e32 v3, v42, v38
	;; [unrolled: 2-line block ×4, first 2 shown]
	v_mul_lo_u32 v36, v35, s34
	s_waitcnt vmcnt(39)
	v_dot4c_i32_i8_e32 v31, v39, v45
	buffer_store_dword v0, off, s[0:3], 0 offset:368
	s_waitcnt vmcnt(38)
	v_dot4c_i32_i8_e32 v32, v39, v46
	s_waitcnt vmcnt(37)
	v_dot4c_i32_i8_e32 v21, v40, v43
	;; [unrolled: 2-line block ×13, first 2 shown]
	buffer_store_dword v1, off, s[0:3], 0 offset:372
	buffer_store_dword v2, off, s[0:3], 0 offset:376
	buffer_store_dword v3, off, s[0:3], 0 offset:380
	buffer_store_dword v29, off, s[0:3], 0 offset:288
	buffer_store_dword v30, off, s[0:3], 0 offset:292
	buffer_store_dword v31, off, s[0:3], 0 offset:296
	buffer_store_dword v32, off, s[0:3], 0 offset:300
	buffer_store_dword v21, off, s[0:3], 0 offset:320
	buffer_store_dword v22, off, s[0:3], 0 offset:324
	buffer_store_dword v23, off, s[0:3], 0 offset:328
	buffer_store_dword v28, off, s[0:3], 0 offset:332
	buffer_store_dword v14, off, s[0:3], 0 offset:352
	buffer_store_dword v15, off, s[0:3], 0 offset:356
	buffer_store_dword v16, off, s[0:3], 0 offset:360
	buffer_store_dword v17, off, s[0:3], 0 offset:364
	buffer_store_dword v4, off, s[0:3], 0 offset:384
	buffer_store_dword v5, off, s[0:3], 0 offset:388
	buffer_store_dword v6, off, s[0:3], 0 offset:392
	buffer_store_dword v7, off, s[0:3], 0 offset:396
	v_mad_u64_u32 v[36:37], s[4:5], v33, s35, v[36:37]
	buffer_load_dword v19, v36, s[48:51], 0 offen
	v_cmp_gt_i32_e64 s[4:5], s18, v33
	v_cmp_gt_i32_e64 s[6:7], s23, v35
	s_and_b64 vcc, s[6:7], s[4:5]
	v_add_u32_e32 v36, s10, v36
	v_add_u32_e32 v41, 64, v33
	s_waitcnt vmcnt(0)
	v_cndmask_b32_e32 v19, 0, v19, vcc
	v_add_u16_sdwa v37, v19, v47 dst_sel:DWORD dst_unused:UNUSED_PAD src0_sel:BYTE_3 src1_sel:DWORD
	v_add_u16_sdwa v38, v19, v48 dst_sel:DWORD dst_unused:UNUSED_PAD src0_sel:WORD_1 src1_sel:DWORD
	v_add_u16_sdwa v39, v19, v49 dst_sel:DWORD dst_unused:UNUSED_PAD src0_sel:BYTE_1 src1_sel:DWORD
	v_add_u16_e32 v19, v19, v50
	v_max_i16_sdwa v40, sext(v19), v34 dst_sel:DWORD dst_unused:UNUSED_PAD src0_sel:BYTE_0 src1_sel:DWORD
	v_max_i16_sdwa v39, sext(v39), v34 dst_sel:DWORD dst_unused:UNUSED_PAD src0_sel:BYTE_0 src1_sel:DWORD
	;; [unrolled: 1-line block ×4, first 2 shown]
	buffer_store_dword v40, off, s[0:3], 0 offset:144
	buffer_store_dword v37, off, s[0:3], 0 offset:156
	;; [unrolled: 1-line block ×4, first 2 shown]
	buffer_load_dword v19, v36, s[48:51], 0 offen
	v_cmp_gt_i32_e32 vcc, s18, v41
	s_and_b64 s[6:7], s[6:7], vcc
	v_add_u32_e32 v36, s11, v36
	s_waitcnt vmcnt(0)
	v_cndmask_b32_e64 v19, 0, v19, s[6:7]
	v_add_u16_e32 v42, v19, v52
	v_add_u16_sdwa v43, v19, v53 dst_sel:DWORD dst_unused:UNUSED_PAD src0_sel:BYTE_3 src1_sel:DWORD
	v_add_u16_sdwa v44, v19, v58 dst_sel:DWORD dst_unused:UNUSED_PAD src0_sel:WORD_1 src1_sel:DWORD
	v_add_u16_sdwa v19, v19, v51 dst_sel:DWORD dst_unused:UNUSED_PAD src0_sel:BYTE_1 src1_sel:DWORD
	v_max_i16_sdwa v42, sext(v42), v34 dst_sel:DWORD dst_unused:UNUSED_PAD src0_sel:BYTE_0 src1_sel:DWORD
	v_max_i16_sdwa v19, sext(v19), v34 dst_sel:DWORD dst_unused:UNUSED_PAD src0_sel:BYTE_0 src1_sel:DWORD
	;; [unrolled: 1-line block ×4, first 2 shown]
	buffer_store_dword v42, off, s[0:3], 0 offset:160
	buffer_store_dword v43, off, s[0:3], 0 offset:172
	;; [unrolled: 1-line block ×4, first 2 shown]
	buffer_load_dword v19, v36, s[48:51], 0 offen
	v_or_b32_e32 v42, 1, v35
	v_cmp_gt_i32_e64 s[6:7], s23, v42
	s_and_b64 s[8:9], s[6:7], s[4:5]
	v_add_u32_e32 v36, s10, v36
	s_and_b64 s[6:7], s[6:7], vcc
	s_waitcnt vmcnt(0)
	v_cndmask_b32_e64 v19, 0, v19, s[8:9]
	v_add_u16_e32 v43, v19, v54
	v_add_u16_sdwa v44, v19, v57 dst_sel:DWORD dst_unused:UNUSED_PAD src0_sel:BYTE_3 src1_sel:DWORD
	v_add_u16_sdwa v45, v19, v56 dst_sel:DWORD dst_unused:UNUSED_PAD src0_sel:WORD_1 src1_sel:DWORD
	v_add_u16_sdwa v19, v19, v55 dst_sel:DWORD dst_unused:UNUSED_PAD src0_sel:BYTE_1 src1_sel:DWORD
	v_max_i16_sdwa v43, sext(v43), v34 dst_sel:DWORD dst_unused:UNUSED_PAD src0_sel:BYTE_0 src1_sel:DWORD
	v_max_i16_sdwa v19, sext(v19), v34 dst_sel:DWORD dst_unused:UNUSED_PAD src0_sel:BYTE_0 src1_sel:DWORD
	v_max_i16_sdwa v45, sext(v45), v34 dst_sel:DWORD dst_unused:UNUSED_PAD src0_sel:BYTE_0 src1_sel:DWORD
	v_max_i16_sdwa v44, sext(v44), v34 dst_sel:DWORD dst_unused:UNUSED_PAD src0_sel:BYTE_0 src1_sel:DWORD
	buffer_store_dword v43, off, s[0:3], 0 offset:176
	buffer_store_dword v44, off, s[0:3], 0 offset:188
	;; [unrolled: 1-line block ×4, first 2 shown]
	buffer_load_dword v19, v36, s[48:51], 0 offen
	s_nop 0
	buffer_load_dword v43, off, s[0:3], 0 offset:192
	buffer_load_dword v44, off, s[0:3], 0 offset:204
	;; [unrolled: 1-line block ×8, first 2 shown]
	v_add_u32_e32 v36, s11, v36
	s_waitcnt vmcnt(8)
	v_cndmask_b32_e64 v19, 0, v19, s[6:7]
	s_waitcnt vmcnt(7)
	v_add_u16_e32 v43, v19, v43
	s_waitcnt vmcnt(6)
	v_add_u16_sdwa v44, v19, v44 dst_sel:DWORD dst_unused:UNUSED_PAD src0_sel:BYTE_3 src1_sel:DWORD
	s_waitcnt vmcnt(5)
	v_add_u16_sdwa v45, v19, v45 dst_sel:DWORD dst_unused:UNUSED_PAD src0_sel:WORD_1 src1_sel:DWORD
	s_waitcnt vmcnt(4)
	v_add_u16_sdwa v19, v19, v46 dst_sel:DWORD dst_unused:UNUSED_PAD src0_sel:BYTE_1 src1_sel:DWORD
	v_max_i16_sdwa v43, sext(v43), v34 dst_sel:DWORD dst_unused:UNUSED_PAD src0_sel:BYTE_0 src1_sel:DWORD
	v_max_i16_sdwa v19, sext(v19), v34 dst_sel:DWORD dst_unused:UNUSED_PAD src0_sel:BYTE_0 src1_sel:DWORD
	;; [unrolled: 1-line block ×4, first 2 shown]
	buffer_store_dword v43, off, s[0:3], 0 offset:192
	buffer_store_dword v44, off, s[0:3], 0 offset:204
	;; [unrolled: 1-line block ×4, first 2 shown]
	buffer_load_dword v19, v36, s[48:51], 0 offen
	v_or_b32_e32 v43, 2, v35
	v_cmp_gt_i32_e64 s[6:7], s23, v43
	s_and_b64 s[8:9], s[6:7], s[4:5]
	v_add_u32_e32 v36, s10, v36
	s_and_b64 s[6:7], s[6:7], vcc
	s_waitcnt vmcnt(0)
	v_cndmask_b32_e64 v19, 0, v19, s[8:9]
	v_add_u16_e32 v44, v19, v47
	v_add_u16_sdwa v45, v19, v50 dst_sel:DWORD dst_unused:UNUSED_PAD src0_sel:BYTE_3 src1_sel:DWORD
	v_add_u16_sdwa v46, v19, v49 dst_sel:DWORD dst_unused:UNUSED_PAD src0_sel:WORD_1 src1_sel:DWORD
	v_add_u16_sdwa v19, v19, v48 dst_sel:DWORD dst_unused:UNUSED_PAD src0_sel:BYTE_1 src1_sel:DWORD
	v_max_i16_sdwa v44, sext(v44), v34 dst_sel:DWORD dst_unused:UNUSED_PAD src0_sel:BYTE_0 src1_sel:DWORD
	v_max_i16_sdwa v19, sext(v19), v34 dst_sel:DWORD dst_unused:UNUSED_PAD src0_sel:BYTE_0 src1_sel:DWORD
	v_max_i16_sdwa v46, sext(v46), v34 dst_sel:DWORD dst_unused:UNUSED_PAD src0_sel:BYTE_0 src1_sel:DWORD
	v_max_i16_sdwa v45, sext(v45), v34 dst_sel:DWORD dst_unused:UNUSED_PAD src0_sel:BYTE_0 src1_sel:DWORD
	buffer_store_dword v44, off, s[0:3], 0 offset:208
	buffer_store_dword v45, off, s[0:3], 0 offset:220
	;; [unrolled: 1-line block ×4, first 2 shown]
	buffer_load_dword v19, v36, s[48:51], 0 offen
	s_nop 0
	buffer_load_dword v44, off, s[0:3], 0 offset:224
	buffer_load_dword v45, off, s[0:3], 0 offset:236
	;; [unrolled: 1-line block ×8, first 2 shown]
	v_add_u32_e32 v36, s11, v36
	s_waitcnt vmcnt(8)
	v_cndmask_b32_e64 v19, 0, v19, s[6:7]
	s_waitcnt vmcnt(7)
	v_add_u16_e32 v44, v19, v44
	s_waitcnt vmcnt(6)
	v_add_u16_sdwa v45, v19, v45 dst_sel:DWORD dst_unused:UNUSED_PAD src0_sel:BYTE_3 src1_sel:DWORD
	s_waitcnt vmcnt(5)
	v_add_u16_sdwa v46, v19, v46 dst_sel:DWORD dst_unused:UNUSED_PAD src0_sel:WORD_1 src1_sel:DWORD
	s_waitcnt vmcnt(4)
	v_add_u16_sdwa v19, v19, v47 dst_sel:DWORD dst_unused:UNUSED_PAD src0_sel:BYTE_1 src1_sel:DWORD
	v_max_i16_sdwa v44, sext(v44), v34 dst_sel:DWORD dst_unused:UNUSED_PAD src0_sel:BYTE_0 src1_sel:DWORD
	v_max_i16_sdwa v19, sext(v19), v34 dst_sel:DWORD dst_unused:UNUSED_PAD src0_sel:BYTE_0 src1_sel:DWORD
	;; [unrolled: 1-line block ×4, first 2 shown]
	buffer_store_dword v44, off, s[0:3], 0 offset:224
	buffer_store_dword v45, off, s[0:3], 0 offset:236
	;; [unrolled: 1-line block ×4, first 2 shown]
	buffer_load_dword v19, v36, s[48:51], 0 offen
	v_or_b32_e32 v44, 3, v35
	v_cmp_gt_i32_e64 s[6:7], s23, v44
	s_and_b64 s[8:9], s[6:7], s[4:5]
	v_add_u32_e32 v36, s10, v36
	s_and_b64 s[6:7], s[6:7], vcc
	s_waitcnt vmcnt(0)
	v_cndmask_b32_e64 v19, 0, v19, s[8:9]
	v_add_u16_e32 v45, v19, v48
	v_add_u16_sdwa v46, v19, v51 dst_sel:DWORD dst_unused:UNUSED_PAD src0_sel:BYTE_3 src1_sel:DWORD
	v_add_u16_sdwa v47, v19, v50 dst_sel:DWORD dst_unused:UNUSED_PAD src0_sel:WORD_1 src1_sel:DWORD
	v_add_u16_sdwa v19, v19, v49 dst_sel:DWORD dst_unused:UNUSED_PAD src0_sel:BYTE_1 src1_sel:DWORD
	v_max_i16_sdwa v45, sext(v45), v34 dst_sel:DWORD dst_unused:UNUSED_PAD src0_sel:BYTE_0 src1_sel:DWORD
	v_max_i16_sdwa v19, sext(v19), v34 dst_sel:DWORD dst_unused:UNUSED_PAD src0_sel:BYTE_0 src1_sel:DWORD
	;; [unrolled: 1-line block ×4, first 2 shown]
	buffer_store_dword v45, off, s[0:3], 0 offset:240
	buffer_store_dword v46, off, s[0:3], 0 offset:252
	;; [unrolled: 1-line block ×4, first 2 shown]
	buffer_load_dword v19, v36, s[48:51], 0 offen
	s_nop 0
	buffer_load_dword v45, off, s[0:3], 0 offset:256
	buffer_load_dword v46, off, s[0:3], 0 offset:264
	;; [unrolled: 1-line block ×3, first 2 shown]
	s_mul_i32 s8, s34, 60
	s_add_i32 s8, s11, s8
	v_add_u32_e32 v36, s8, v36
	s_waitcnt vmcnt(3)
	v_cndmask_b32_e64 v19, 0, v19, s[6:7]
	s_waitcnt vmcnt(2)
	v_add_u16_e32 v45, v19, v45
	v_add_u16_sdwa v48, v19, v59 dst_sel:DWORD dst_unused:UNUSED_PAD src0_sel:BYTE_3 src1_sel:DWORD
	s_waitcnt vmcnt(1)
	v_add_u16_sdwa v46, v19, v46 dst_sel:DWORD dst_unused:UNUSED_PAD src0_sel:WORD_1 src1_sel:DWORD
	s_waitcnt vmcnt(0)
	v_add_u16_sdwa v19, v19, v47 dst_sel:DWORD dst_unused:UNUSED_PAD src0_sel:BYTE_1 src1_sel:DWORD
	v_max_i16_sdwa v45, sext(v45), v34 dst_sel:DWORD dst_unused:UNUSED_PAD src0_sel:BYTE_0 src1_sel:DWORD
	v_max_i16_sdwa v19, sext(v19), v34 dst_sel:DWORD dst_unused:UNUSED_PAD src0_sel:BYTE_0 src1_sel:DWORD
	;; [unrolled: 1-line block ×4, first 2 shown]
	buffer_store_dword v45, off, s[0:3], 0 offset:256
	buffer_store_dword v47, off, s[0:3], 0 offset:268
	;; [unrolled: 1-line block ×4, first 2 shown]
	buffer_load_dword v45, v36, s[48:51], 0 offen
	v_add_u32_e32 v19, 64, v35
	v_cmp_gt_i32_e64 s[6:7], s23, v19
	s_and_b64 s[8:9], s[6:7], s[4:5]
	v_add_u32_e32 v36, s10, v36
	s_and_b64 s[6:7], s[6:7], vcc
	s_waitcnt vmcnt(0)
	v_cndmask_b32_e64 v45, 0, v45, s[8:9]
	v_add_u16_e32 v25, v45, v25
	v_add_u16_sdwa v27, v45, v27 dst_sel:DWORD dst_unused:UNUSED_PAD src0_sel:BYTE_3 src1_sel:DWORD
	v_add_u16_sdwa v26, v45, v26 dst_sel:DWORD dst_unused:UNUSED_PAD src0_sel:WORD_1 src1_sel:DWORD
	v_add_u16_sdwa v24, v45, v24 dst_sel:DWORD dst_unused:UNUSED_PAD src0_sel:BYTE_1 src1_sel:DWORD
	v_max_i16_sdwa v25, sext(v25), v34 dst_sel:DWORD dst_unused:UNUSED_PAD src0_sel:BYTE_0 src1_sel:DWORD
	v_max_i16_sdwa v24, sext(v24), v34 dst_sel:DWORD dst_unused:UNUSED_PAD src0_sel:BYTE_0 src1_sel:DWORD
	;; [unrolled: 1-line block ×4, first 2 shown]
	buffer_store_dword v25, off, s[0:3], 0 offset:272
	buffer_store_dword v27, off, s[0:3], 0 offset:284
	;; [unrolled: 1-line block ×4, first 2 shown]
	buffer_load_dword v24, v36, s[48:51], 0 offen
	v_add_u32_e32 v25, s11, v36
	s_waitcnt vmcnt(0)
	v_cndmask_b32_e64 v24, 0, v24, s[6:7]
	v_add_u16_e32 v26, v24, v29
	v_add_u16_sdwa v27, v24, v32 dst_sel:DWORD dst_unused:UNUSED_PAD src0_sel:BYTE_3 src1_sel:DWORD
	v_add_u16_sdwa v29, v24, v31 dst_sel:DWORD dst_unused:UNUSED_PAD src0_sel:WORD_1 src1_sel:DWORD
	v_add_u16_sdwa v24, v24, v30 dst_sel:DWORD dst_unused:UNUSED_PAD src0_sel:BYTE_1 src1_sel:DWORD
	v_max_i16_sdwa v26, sext(v26), v34 dst_sel:DWORD dst_unused:UNUSED_PAD src0_sel:BYTE_0 src1_sel:DWORD
	v_max_i16_sdwa v24, sext(v24), v34 dst_sel:DWORD dst_unused:UNUSED_PAD src0_sel:BYTE_0 src1_sel:DWORD
	;; [unrolled: 1-line block ×4, first 2 shown]
	buffer_store_dword v26, off, s[0:3], 0 offset:288
	buffer_store_dword v27, off, s[0:3], 0 offset:300
	;; [unrolled: 1-line block ×4, first 2 shown]
	buffer_load_dword v26, v25, s[48:51], 0 offen
	v_add_u32_e32 v24, 0x41, v35
	v_cmp_gt_i32_e64 s[6:7], s23, v24
	s_and_b64 s[8:9], s[6:7], s[4:5]
	v_add_u32_e32 v25, s10, v25
	s_and_b64 s[6:7], s[6:7], vcc
	s_waitcnt vmcnt(0)
	v_cndmask_b32_e64 v26, 0, v26, s[8:9]
	v_add_u16_e32 v13, v26, v13
	v_add_u16_sdwa v20, v26, v20 dst_sel:DWORD dst_unused:UNUSED_PAD src0_sel:BYTE_3 src1_sel:DWORD
	v_add_u16_sdwa v18, v26, v18 dst_sel:DWORD dst_unused:UNUSED_PAD src0_sel:WORD_1 src1_sel:DWORD
	v_add_u16_sdwa v12, v26, v12 dst_sel:DWORD dst_unused:UNUSED_PAD src0_sel:BYTE_1 src1_sel:DWORD
	v_max_i16_sdwa v13, sext(v13), v34 dst_sel:DWORD dst_unused:UNUSED_PAD src0_sel:BYTE_0 src1_sel:DWORD
	v_max_i16_sdwa v12, sext(v12), v34 dst_sel:DWORD dst_unused:UNUSED_PAD src0_sel:BYTE_0 src1_sel:DWORD
	v_max_i16_sdwa v18, sext(v18), v34 dst_sel:DWORD dst_unused:UNUSED_PAD src0_sel:BYTE_0 src1_sel:DWORD
	v_max_i16_sdwa v20, sext(v20), v34 dst_sel:DWORD dst_unused:UNUSED_PAD src0_sel:BYTE_0 src1_sel:DWORD
	buffer_store_dword v13, off, s[0:3], 0 offset:304
	buffer_store_dword v20, off, s[0:3], 0 offset:316
	buffer_store_dword v18, off, s[0:3], 0 offset:312
	buffer_store_dword v12, off, s[0:3], 0 offset:308
	buffer_load_dword v12, v25, s[48:51], 0 offen
	v_add_u32_e32 v13, s11, v25
	s_waitcnt vmcnt(0)
	v_cndmask_b32_e64 v12, 0, v12, s[6:7]
	v_add_u16_e32 v18, v12, v21
	v_add_u16_sdwa v20, v12, v28 dst_sel:DWORD dst_unused:UNUSED_PAD src0_sel:BYTE_3 src1_sel:DWORD
	v_add_u16_sdwa v21, v12, v23 dst_sel:DWORD dst_unused:UNUSED_PAD src0_sel:WORD_1 src1_sel:DWORD
	v_add_u16_sdwa v12, v12, v22 dst_sel:DWORD dst_unused:UNUSED_PAD src0_sel:BYTE_1 src1_sel:DWORD
	v_max_i16_sdwa v18, sext(v18), v34 dst_sel:DWORD dst_unused:UNUSED_PAD src0_sel:BYTE_0 src1_sel:DWORD
	v_max_i16_sdwa v12, sext(v12), v34 dst_sel:DWORD dst_unused:UNUSED_PAD src0_sel:BYTE_0 src1_sel:DWORD
	;; [unrolled: 1-line block ×4, first 2 shown]
	buffer_store_dword v18, off, s[0:3], 0 offset:320
	buffer_store_dword v20, off, s[0:3], 0 offset:332
	;; [unrolled: 1-line block ×4, first 2 shown]
	buffer_load_dword v12, v13, s[48:51], 0 offen
	v_add_u32_e32 v18, 0x42, v35
	v_cmp_gt_i32_e64 s[6:7], s23, v18
	s_and_b64 s[8:9], s[6:7], s[4:5]
	v_add_u32_e32 v13, s10, v13
	s_and_b64 s[6:7], s[6:7], vcc
	s_waitcnt vmcnt(0)
	v_cndmask_b32_e64 v12, 0, v12, s[8:9]
	v_add_u16_e32 v8, v12, v8
	v_add_u16_sdwa v11, v12, v11 dst_sel:DWORD dst_unused:UNUSED_PAD src0_sel:BYTE_3 src1_sel:DWORD
	v_add_u16_sdwa v10, v12, v10 dst_sel:DWORD dst_unused:UNUSED_PAD src0_sel:WORD_1 src1_sel:DWORD
	v_add_u16_sdwa v9, v12, v9 dst_sel:DWORD dst_unused:UNUSED_PAD src0_sel:BYTE_1 src1_sel:DWORD
	v_max_i16_sdwa v8, sext(v8), v34 dst_sel:DWORD dst_unused:UNUSED_PAD src0_sel:BYTE_0 src1_sel:DWORD
	v_max_i16_sdwa v9, sext(v9), v34 dst_sel:DWORD dst_unused:UNUSED_PAD src0_sel:BYTE_0 src1_sel:DWORD
	v_max_i16_sdwa v10, sext(v10), v34 dst_sel:DWORD dst_unused:UNUSED_PAD src0_sel:BYTE_0 src1_sel:DWORD
	v_max_i16_sdwa v11, sext(v11), v34 dst_sel:DWORD dst_unused:UNUSED_PAD src0_sel:BYTE_0 src1_sel:DWORD
	buffer_store_dword v8, off, s[0:3], 0 offset:336
	buffer_store_dword v11, off, s[0:3], 0 offset:348
	;; [unrolled: 1-line block ×4, first 2 shown]
	buffer_load_dword v8, v13, s[48:51], 0 offen
	v_add_u32_e32 v9, s11, v13
	v_cmp_gt_i32_e64 s[8:9], s12, v35
	s_waitcnt vmcnt(0)
	v_cndmask_b32_e64 v8, 0, v8, s[6:7]
	v_add_u16_e32 v10, v8, v14
	v_add_u16_sdwa v11, v8, v17 dst_sel:DWORD dst_unused:UNUSED_PAD src0_sel:BYTE_3 src1_sel:DWORD
	v_add_u16_sdwa v12, v8, v16 dst_sel:DWORD dst_unused:UNUSED_PAD src0_sel:WORD_1 src1_sel:DWORD
	v_add_u16_sdwa v8, v8, v15 dst_sel:DWORD dst_unused:UNUSED_PAD src0_sel:BYTE_1 src1_sel:DWORD
	v_max_i16_sdwa v10, sext(v10), v34 dst_sel:DWORD dst_unused:UNUSED_PAD src0_sel:BYTE_0 src1_sel:DWORD
	v_max_i16_sdwa v8, sext(v8), v34 dst_sel:DWORD dst_unused:UNUSED_PAD src0_sel:BYTE_0 src1_sel:DWORD
	;; [unrolled: 1-line block ×4, first 2 shown]
	buffer_store_dword v10, off, s[0:3], 0 offset:352
	buffer_store_dword v11, off, s[0:3], 0 offset:364
	;; [unrolled: 1-line block ×4, first 2 shown]
	buffer_load_dword v8, v9, s[48:51], 0 offen
	v_add_u32_e32 v10, 0x43, v35
	v_cmp_gt_i32_e64 s[6:7], s23, v10
	s_and_b64 s[4:5], s[6:7], s[4:5]
	v_add_u32_e32 v9, s10, v9
	s_and_b64 vcc, s[6:7], vcc
	s_waitcnt vmcnt(0)
	v_cndmask_b32_e64 v8, 0, v8, s[4:5]
	v_add_u16_e32 v0, v8, v0
	v_add_u16_sdwa v3, v8, v3 dst_sel:DWORD dst_unused:UNUSED_PAD src0_sel:BYTE_3 src1_sel:DWORD
	v_add_u16_sdwa v2, v8, v2 dst_sel:DWORD dst_unused:UNUSED_PAD src0_sel:WORD_1 src1_sel:DWORD
	v_add_u16_sdwa v1, v8, v1 dst_sel:DWORD dst_unused:UNUSED_PAD src0_sel:BYTE_1 src1_sel:DWORD
	v_max_i16_sdwa v0, sext(v0), v34 dst_sel:DWORD dst_unused:UNUSED_PAD src0_sel:BYTE_0 src1_sel:DWORD
	v_max_i16_sdwa v1, sext(v1), v34 dst_sel:DWORD dst_unused:UNUSED_PAD src0_sel:BYTE_0 src1_sel:DWORD
	v_max_i16_sdwa v2, sext(v2), v34 dst_sel:DWORD dst_unused:UNUSED_PAD src0_sel:BYTE_0 src1_sel:DWORD
	v_max_i16_sdwa v3, sext(v3), v34 dst_sel:DWORD dst_unused:UNUSED_PAD src0_sel:BYTE_0 src1_sel:DWORD
	buffer_store_dword v0, off, s[0:3], 0 offset:368
	buffer_store_dword v3, off, s[0:3], 0 offset:380
	;; [unrolled: 1-line block ×4, first 2 shown]
	buffer_load_dword v2, v9, s[48:51], 0 offen
	v_mul_lo_u32 v0, v35, s14
	v_cmp_gt_i32_e64 s[4:5], s17, v33
	v_mad_u64_u32 v[0:1], s[10:11], v33, s15, v[0:1]
	v_bfrev_b32_e32 v3, 1
	s_and_b64 s[10:11], s[8:9], s[4:5]
	v_lshlrev_b16_e32 v8, 8, v39
	v_lshlrev_b16_e32 v9, 8, v37
	v_cndmask_b32_e64 v1, v3, 0, s[10:11]
	v_or_b32_e32 v8, v40, v8
	v_or_b32_sdwa v9, v38, v9 dst_sel:WORD_1 dst_unused:UNUSED_PAD src0_sel:DWORD src1_sel:DWORD
	v_add_u32_e32 v1, v1, v0
	v_or_b32_sdwa v8, v8, v9 dst_sel:DWORD dst_unused:UNUSED_PAD src0_sel:WORD_0 src1_sel:DWORD
	s_lshl_b32 s11, s15, 6
	s_mov_b32 s10, 0xc0c0500
	s_waitcnt vmcnt(0)
	v_cndmask_b32_e32 v2, 0, v2, vcc
	v_add_u16_e32 v4, v2, v4
	v_add_u16_sdwa v7, v2, v7 dst_sel:DWORD dst_unused:UNUSED_PAD src0_sel:BYTE_3 src1_sel:DWORD
	v_add_u16_sdwa v6, v2, v6 dst_sel:DWORD dst_unused:UNUSED_PAD src0_sel:WORD_1 src1_sel:DWORD
	v_add_u16_sdwa v2, v2, v5 dst_sel:DWORD dst_unused:UNUSED_PAD src0_sel:BYTE_1 src1_sel:DWORD
	v_max_i16_sdwa v4, sext(v4), v34 dst_sel:DWORD dst_unused:UNUSED_PAD src0_sel:BYTE_0 src1_sel:DWORD
	v_max_i16_sdwa v2, sext(v2), v34 dst_sel:DWORD dst_unused:UNUSED_PAD src0_sel:BYTE_0 src1_sel:DWORD
	;; [unrolled: 1-line block ×4, first 2 shown]
	buffer_store_dword v4, off, s[0:3], 0 offset:384
	buffer_store_dword v6, off, s[0:3], 0 offset:396
	;; [unrolled: 1-line block ×4, first 2 shown]
	buffer_store_dword v8, v1, s[44:47], 0 offen
	buffer_load_dword v1, off, s[0:3], 0 offset:164
	s_nop 0
	buffer_load_dword v2, off, s[0:3], 0 offset:168
	buffer_load_dword v4, off, s[0:3], 0 offset:172
	;; [unrolled: 1-line block ×3, first 2 shown]
	v_cmp_gt_i32_e32 vcc, s17, v41
	s_and_b64 s[6:7], s[8:9], vcc
	v_add_u32_e32 v6, s11, v0
	v_cndmask_b32_e64 v7, v3, 0, s[6:7]
	v_add_u32_e32 v7, v7, v6
	v_cmp_gt_i32_e64 s[6:7], s12, v42
	s_and_b64 s[8:9], s[6:7], vcc
	v_add_u32_e32 v6, s14, v6
	s_and_b64 s[6:7], s[6:7], s[4:5]
	v_add_u32_e32 v0, s14, v0
	s_waitcnt vmcnt(3)
	v_lshlrev_b32_e32 v1, 8, v1
	s_waitcnt vmcnt(2)
	v_lshlrev_b32_e32 v2, 16, v2
	;; [unrolled: 2-line block ×3, first 2 shown]
	v_and_b32_e32 v2, 0xff0000, v2
	s_waitcnt vmcnt(0)
	v_perm_b32 v1, v1, v5, s10
	v_or3_b32 v1, v1, v2, v4
	buffer_store_dword v1, v7, s[44:47], 0 offen
	buffer_load_dword v1, off, s[0:3], 0 offset:196
	s_nop 0
	buffer_load_dword v2, off, s[0:3], 0 offset:200
	buffer_load_dword v4, off, s[0:3], 0 offset:204
	;; [unrolled: 1-line block ×3, first 2 shown]
	v_cndmask_b32_e64 v7, v3, 0, s[8:9]
	v_add_u32_e32 v7, v7, v6
	v_add_u32_e32 v6, s14, v6
	s_waitcnt vmcnt(3)
	v_lshlrev_b32_e32 v1, 8, v1
	s_waitcnt vmcnt(2)
	v_lshlrev_b32_e32 v2, 16, v2
	;; [unrolled: 2-line block ×3, first 2 shown]
	v_and_b32_e32 v2, 0xff0000, v2
	s_waitcnt vmcnt(0)
	v_perm_b32 v1, v1, v5, s10
	v_or3_b32 v1, v1, v2, v4
	buffer_store_dword v1, v7, s[44:47], 0 offen
	buffer_load_dword v1, off, s[0:3], 0 offset:180
	s_nop 0
	buffer_load_dword v2, off, s[0:3], 0 offset:184
	buffer_load_dword v4, off, s[0:3], 0 offset:188
	;; [unrolled: 1-line block ×3, first 2 shown]
	v_cndmask_b32_e64 v7, v3, 0, s[6:7]
	v_add_u32_e32 v7, v0, v7
	v_cmp_gt_i32_e64 s[6:7], s12, v43
	s_and_b64 s[8:9], s[6:7], s[4:5]
	s_and_b64 s[6:7], s[6:7], vcc
	s_waitcnt vmcnt(3)
	v_lshlrev_b32_e32 v1, 8, v1
	s_waitcnt vmcnt(2)
	v_lshlrev_b32_e32 v2, 16, v2
	;; [unrolled: 2-line block ×3, first 2 shown]
	v_and_b32_e32 v2, 0xff0000, v2
	s_waitcnt vmcnt(0)
	v_perm_b32 v1, v1, v5, s10
	v_or3_b32 v1, v1, v2, v4
	buffer_store_dword v1, v7, s[44:47], 0 offen
	buffer_load_dword v1, off, s[0:3], 0 offset:212
	s_nop 0
	buffer_load_dword v2, off, s[0:3], 0 offset:216
	buffer_load_dword v4, off, s[0:3], 0 offset:220
	buffer_load_dword v5, off, s[0:3], 0 offset:208
	v_cndmask_b32_e64 v7, v3, 0, s[8:9]
	v_add3_u32 v0, v7, s14, v0
	s_waitcnt vmcnt(3)
	v_lshlrev_b32_e32 v1, 8, v1
	s_waitcnt vmcnt(2)
	v_lshlrev_b32_e32 v2, 16, v2
	;; [unrolled: 2-line block ×3, first 2 shown]
	v_and_b32_e32 v2, 0xff0000, v2
	s_waitcnt vmcnt(0)
	v_perm_b32 v1, v1, v5, s10
	v_or3_b32 v1, v1, v2, v4
	buffer_store_dword v1, v0, s[44:47], 0 offen
	buffer_load_dword v0, off, s[0:3], 0 offset:228
	s_nop 0
	buffer_load_dword v1, off, s[0:3], 0 offset:232
	buffer_load_dword v2, off, s[0:3], 0 offset:236
	;; [unrolled: 1-line block ×3, first 2 shown]
	v_cndmask_b32_e64 v5, v3, 0, s[6:7]
	v_add_u32_e32 v5, v6, v5
	v_cmp_gt_i32_e64 s[6:7], s12, v44
	s_and_b64 s[8:9], s[6:7], vcc
	v_add_u32_e32 v6, s14, v6
	s_and_b64 s[6:7], s[6:7], s[4:5]
	s_waitcnt vmcnt(3)
	v_lshlrev_b32_e32 v0, 8, v0
	s_waitcnt vmcnt(2)
	v_lshlrev_b32_e32 v1, 16, v1
	;; [unrolled: 2-line block ×3, first 2 shown]
	v_and_b32_e32 v1, 0xff0000, v1
	s_waitcnt vmcnt(0)
	v_perm_b32 v0, v0, v4, s10
	v_or3_b32 v0, v0, v1, v2
	buffer_store_dword v0, v5, s[44:47], 0 offen
	buffer_load_dword v0, off, s[0:3], 0 offset:260
	s_nop 0
	buffer_load_dword v1, off, s[0:3], 0 offset:264
	buffer_load_dword v2, off, s[0:3], 0 offset:268
	;; [unrolled: 1-line block ×3, first 2 shown]
	v_cndmask_b32_e64 v5, v3, 0, s[8:9]
	v_add_u32_e32 v5, v6, v5
	v_subrev_u32_e32 v6, s11, v6
	s_waitcnt vmcnt(3)
	v_lshlrev_b32_e32 v0, 8, v0
	s_waitcnt vmcnt(2)
	v_lshlrev_b32_e32 v1, 16, v1
	;; [unrolled: 2-line block ×3, first 2 shown]
	v_and_b32_e32 v1, 0xff0000, v1
	s_waitcnt vmcnt(0)
	v_perm_b32 v0, v0, v4, s10
	v_or3_b32 v0, v0, v1, v2
	buffer_store_dword v0, v5, s[44:47], 0 offen
	buffer_load_dword v0, off, s[0:3], 0 offset:244
	s_nop 0
	buffer_load_dword v1, off, s[0:3], 0 offset:248
	buffer_load_dword v2, off, s[0:3], 0 offset:252
	;; [unrolled: 1-line block ×3, first 2 shown]
	v_cndmask_b32_e64 v5, v3, 0, s[6:7]
	v_add_u32_e32 v5, v6, v5
	v_cmp_gt_i32_e64 s[6:7], s12, v10
	s_and_b64 s[8:9], s[6:7], s[4:5]
	s_and_b64 s[6:7], s[6:7], vcc
	s_waitcnt vmcnt(3)
	v_lshlrev_b32_e32 v0, 8, v0
	s_waitcnt vmcnt(2)
	v_lshlrev_b32_e32 v1, 16, v1
	;; [unrolled: 2-line block ×3, first 2 shown]
	v_and_b32_e32 v1, 0xff0000, v1
	s_waitcnt vmcnt(0)
	v_perm_b32 v0, v0, v4, s10
	v_or3_b32 v0, v0, v1, v2
	buffer_store_dword v0, v5, s[44:47], 0 offen
	buffer_load_dword v0, off, s[0:3], 0 offset:372
	s_nop 0
	buffer_load_dword v1, off, s[0:3], 0 offset:376
	buffer_load_dword v2, off, s[0:3], 0 offset:380
	;; [unrolled: 1-line block ×3, first 2 shown]
	v_cndmask_b32_e64 v5, v3, 0, s[8:9]
	v_add3_u32 v5, v5, s13, v6
	s_add_i32 s8, s15, s14
	v_lshl_add_u32 v6, s8, 6, v6
	s_waitcnt vmcnt(3)
	v_lshlrev_b32_e32 v0, 8, v0
	s_waitcnt vmcnt(2)
	v_lshlrev_b32_e32 v1, 16, v1
	;; [unrolled: 2-line block ×3, first 2 shown]
	v_and_b32_e32 v1, 0xff0000, v1
	s_waitcnt vmcnt(0)
	v_perm_b32 v0, v0, v4, s10
	v_or3_b32 v0, v0, v1, v2
	buffer_store_dword v0, v5, s[44:47], 0 offen
	buffer_load_dword v0, off, s[0:3], 0 offset:388
	s_nop 0
	buffer_load_dword v1, off, s[0:3], 0 offset:392
	buffer_load_dword v2, off, s[0:3], 0 offset:396
	;; [unrolled: 1-line block ×3, first 2 shown]
	v_cndmask_b32_e64 v5, v3, 0, s[6:7]
	v_add_u32_e32 v5, v6, v5
	v_cmp_ge_i32_e64 s[6:7], s12, v10
	s_and_b64 s[6:7], s[6:7], vcc
	v_subrev_u32_e32 v6, s14, v6
	s_waitcnt vmcnt(3)
	v_lshlrev_b32_e32 v0, 8, v0
	s_waitcnt vmcnt(2)
	v_lshlrev_b32_e32 v1, 16, v1
	;; [unrolled: 2-line block ×3, first 2 shown]
	v_and_b32_e32 v1, 0xff0000, v1
	s_waitcnt vmcnt(0)
	v_perm_b32 v0, v0, v4, s10
	v_or3_b32 v0, v0, v1, v2
	buffer_store_dword v0, v5, s[44:47], 0 offen
	buffer_load_dword v0, off, s[0:3], 0 offset:356
	s_nop 0
	buffer_load_dword v1, off, s[0:3], 0 offset:360
	buffer_load_dword v2, off, s[0:3], 0 offset:364
	;; [unrolled: 1-line block ×3, first 2 shown]
	v_cndmask_b32_e64 v5, v3, 0, s[6:7]
	v_add_u32_e32 v5, v6, v5
	v_cmp_gt_i32_e64 s[6:7], s12, v18
	s_and_b64 s[6:7], s[6:7], s[4:5]
	v_subrev_u32_e32 v6, s11, v6
	s_waitcnt vmcnt(3)
	v_lshlrev_b32_e32 v0, 8, v0
	s_waitcnt vmcnt(2)
	v_lshlrev_b32_e32 v1, 16, v1
	;; [unrolled: 2-line block ×3, first 2 shown]
	v_and_b32_e32 v1, 0xff0000, v1
	s_waitcnt vmcnt(0)
	v_perm_b32 v0, v0, v4, s10
	v_or3_b32 v0, v0, v1, v2
	buffer_store_dword v0, v5, s[44:47], 0 offen
	buffer_load_dword v0, off, s[0:3], 0 offset:340
	s_nop 0
	buffer_load_dword v1, off, s[0:3], 0 offset:344
	buffer_load_dword v2, off, s[0:3], 0 offset:348
	;; [unrolled: 1-line block ×3, first 2 shown]
	v_cndmask_b32_e64 v5, v3, 0, s[6:7]
	v_add_u32_e32 v5, v6, v5
	v_cmp_ge_i32_e64 s[6:7], s12, v18
	s_and_b64 s[6:7], s[6:7], s[4:5]
	v_subrev_u32_e32 v6, s14, v6
	s_waitcnt vmcnt(3)
	v_lshlrev_b32_e32 v0, 8, v0
	s_waitcnt vmcnt(2)
	v_lshlrev_b32_e32 v1, 16, v1
	;; [unrolled: 2-line block ×3, first 2 shown]
	v_and_b32_e32 v1, 0xff0000, v1
	s_waitcnt vmcnt(0)
	v_perm_b32 v0, v0, v4, s10
	v_or3_b32 v0, v0, v1, v2
	buffer_store_dword v0, v5, s[44:47], 0 offen
	buffer_load_dword v0, off, s[0:3], 0 offset:308
	s_nop 0
	buffer_load_dword v1, off, s[0:3], 0 offset:312
	buffer_load_dword v2, off, s[0:3], 0 offset:316
	;; [unrolled: 1-line block ×3, first 2 shown]
	v_cndmask_b32_e64 v5, v3, 0, s[6:7]
	v_add_u32_e32 v5, v6, v5
	v_cmp_gt_i32_e64 s[6:7], s12, v24
	s_and_b64 s[6:7], s[6:7], vcc
	v_add_u32_e32 v6, s11, v6
	s_waitcnt vmcnt(3)
	v_lshlrev_b32_e32 v0, 8, v0
	s_waitcnt vmcnt(2)
	v_lshlrev_b32_e32 v1, 16, v1
	;; [unrolled: 2-line block ×3, first 2 shown]
	v_and_b32_e32 v1, 0xff0000, v1
	s_waitcnt vmcnt(0)
	v_perm_b32 v0, v0, v4, s10
	v_or3_b32 v0, v0, v1, v2
	buffer_store_dword v0, v5, s[44:47], 0 offen
	buffer_load_dword v0, off, s[0:3], 0 offset:324
	s_nop 0
	buffer_load_dword v1, off, s[0:3], 0 offset:328
	buffer_load_dword v2, off, s[0:3], 0 offset:332
	;; [unrolled: 1-line block ×3, first 2 shown]
	v_cndmask_b32_e64 v5, v3, 0, s[6:7]
	v_add_u32_e32 v5, v6, v5
	v_cmp_ge_i32_e64 s[6:7], s12, v24
	s_and_b64 s[6:7], s[6:7], vcc
	v_subrev_u32_e32 v6, s14, v6
	v_cmp_gt_i32_e32 vcc, s12, v19
	s_and_b64 s[4:5], vcc, s[4:5]
	s_waitcnt vmcnt(3)
	v_lshlrev_b32_e32 v0, 8, v0
	s_waitcnt vmcnt(2)
	v_lshlrev_b32_e32 v1, 16, v1
	;; [unrolled: 2-line block ×3, first 2 shown]
	v_and_b32_e32 v1, 0xff0000, v1
	s_waitcnt vmcnt(0)
	v_perm_b32 v0, v0, v4, s10
	v_or3_b32 v0, v0, v1, v2
	buffer_store_dword v0, v5, s[44:47], 0 offen
	buffer_load_dword v0, off, s[0:3], 0 offset:292
	s_nop 0
	buffer_load_dword v1, off, s[0:3], 0 offset:296
	buffer_load_dword v2, off, s[0:3], 0 offset:300
	buffer_load_dword v4, off, s[0:3], 0 offset:288
	v_cndmask_b32_e64 v5, v3, 0, s[6:7]
	v_add_u32_e32 v5, v6, v5
	v_cndmask_b32_e64 v3, v3, 0, s[4:5]
	v_subrev_u32_e32 v3, s11, v3
	s_waitcnt vmcnt(3)
	v_lshlrev_b32_e32 v0, 8, v0
	s_waitcnt vmcnt(2)
	v_lshlrev_b32_e32 v1, 16, v1
	;; [unrolled: 2-line block ×3, first 2 shown]
	v_and_b32_e32 v1, 0xff0000, v1
	s_waitcnt vmcnt(0)
	v_perm_b32 v0, v0, v4, s10
	v_or3_b32 v0, v0, v1, v2
	buffer_store_dword v0, v5, s[44:47], 0 offen
	buffer_load_dword v0, off, s[0:3], 0 offset:276
	s_nop 0
	buffer_load_dword v1, off, s[0:3], 0 offset:280
	buffer_load_dword v2, off, s[0:3], 0 offset:284
	;; [unrolled: 1-line block ×3, first 2 shown]
	s_waitcnt vmcnt(3)
	v_lshlrev_b32_e32 v0, 8, v0
	s_waitcnt vmcnt(2)
	v_lshlrev_b32_e32 v1, 16, v1
	;; [unrolled: 2-line block ×3, first 2 shown]
	v_and_b32_e32 v1, 0xff0000, v1
	s_waitcnt vmcnt(0)
	v_perm_b32 v0, v0, v4, s10
	v_or3_b32 v0, v0, v1, v2
	v_add_u32_e32 v1, v3, v6
	buffer_store_dword v0, v1, s[44:47], 0 offen
	s_endpgm
	.section	.rodata,"a",@progbits
	.p2align	6, 0x0
	.amdhsa_kernel _ZN2ck16tensor_operation6device12_GLOBAL__N_137kernel_grouped_conv_fwd_dl_multiple_dINS_32GridwiseGemmDlMultipleD_km_kn_mnILi256EaiNS_5TupleIJaEEEaNS0_12element_wise11PassThroughES8_NS7_7AddReluELNS_25InMemoryDataOperationEnumE0ENS_16TensorDescriptorINS5_IJNS_5EmbedINS5_IJiiiiiEEESD_Lb0EEENS_11PassThroughIiEENS_3PadIiiiLb0EEESI_SI_SG_SG_NSC_INS5_IJiiEEESJ_Lb0EEESK_SK_SG_NS_23Merge_v2_magic_divisionINS5_IJiiiiEEEEESN_NS_8RightPadIiiLb0EEESP_NS_7UnMergeISJ_Lb0EEESG_EEENS5_IJNS_8SequenceIJLi0EEEENST_IJLi1EEEENST_IJLi2EEEENST_IJLi3EEEENST_IJLi4EEEENST_IJLi5EEEENST_IJLi6EEEENST_IJLi7EEEENST_IJLi8EEEENST_IJLi9EEEENST_IJLi10EEEENST_IJLi11ELi13ELi15ELi17EEEENST_IJLi12ELi14ELi16ELi18EEEENST_IJLi19EEEENST_IJLi20EEEENST_IJLi22EEEENST_IJLi21EEEEEEENS5_IJNST_IJLi1ELi2ELi3ELi4ELi5EEEES10_S11_S12_S13_S14_NST_IJLi11EEEENST_IJLi12ELi13EEEENST_IJLi14ELi15EEEENST_IJLi16ELi17EEEENST_IJLi18EEEES17_S18_S1A_S19_NST_IJLi23ELi24EEEENST_IJLi25EEEEEEENST_IJLi23ELi25ELi24EEEElEENSB_INS5_IJSR_SP_SP_SR_SG_EEENS5_IJSU_SV_SW_SY_SX_EEENS5_IJNST_IJLi1ELi2EEEESX_SY_NST_IJLi5ELi6EEEES11_EEENST_IJLi5ELi7ELi6EEEElEENSB_INS5_IJSK_SP_SP_EEENS5_IJSU_SV_SW_EEENS5_IJS1P_SX_SY_EEENST_IJLi3ELi4EEEElEELi128ELi128ELi16ELi4ELi4ELi4ELi1ENST_IJLi8ELi2EEEES1Z_NST_IJLi8ELi1ELi1ELi4EEEENST_IJLi2ELi1ELi128ELi1EEEENST_IJLi1ELi2ELi0ELi3EEEES22_NST_IJLi4ELi1ELi1ELi4EEEES22_NST_IJLi1ELi1ELi1ELi4EEEES20_S21_S22_S22_S23_S22_S24_NST_IJLi0ELi1ELi2ELi3ELi4ELi5EEEELi5ELi4EEEaNS5_IJPKaEEEaS8_S8_S9_NSB_INS5_IJSE_SG_SI_SI_SI_SG_SG_SK_SK_SK_SG_SN_SN_SP_SP_SR_SG_SG_NSQ_INS5_IJiNS_17integral_constantIiLi128EEEEEELb0EEENSF_INS2A_IiLi4EEEEEEEENS5_IJSU_SV_SW_SX_SY_SZ_S10_S11_S12_S13_S14_S15_S16_S17_S18_S19_S1A_NST_IJLi23EEEES1J_NST_IJLi24EEEEEEENS5_IJS1C_S10_S11_S12_S13_S14_S1D_S1E_S1F_S1G_S1H_S17_S18_S1A_S19_S1I_S1J_NST_IJLi26EEEENST_IJLi27ELi28EEEENST_IJLi29EEEEEEENST_IJLi26ELi27ELi28ELi29EEEElEENSB_INS5_IJSR_SP_SP_SR_SG_SG_S2D_S2F_EEENS5_IJSU_SV_SW_SY_SX_SZ_S11_S10_EEENS5_IJS1P_SX_SY_S1Q_S11_S12_NST_IJLi9ELi10EEEES1D_EEENST_IJLi8ELi9ELi10ELi11EEEElEENS5_IJNSB_INS5_IJSK_SP_SP_NSQ_INS5_IJiNS2A_IiLi2EEENS2A_IiLi64EEEEEELb0EEES2Z_EEENS5_IJSU_SV_SW_SX_SY_EEENS5_IJS1P_SX_SY_NST_IJLi5ELi6ELi7EEEENST_IJLi8ELi9ELi10EEEEEEENST_IJLi5ELi6ELi7ELi8ELi9ELi10EEEElEEEEES36_NS_31BlockToCTileMap_M00_N00_M01_N01ILi128ELi128ES1Y_Lb0EEENS1_30ComputePtrOffsetOfStridedBatchILi1ELi1ELi1EvEELb0ELb1EEEvPKT0_S3E_T1_PT2_T3_T4_T5_iT6_T7_T8_T9_T10_T11_
		.amdhsa_group_segment_fixed_size 32768
		.amdhsa_private_segment_fixed_size 480
		.amdhsa_kernarg_size 1024
		.amdhsa_user_sgpr_count 8
		.amdhsa_user_sgpr_private_segment_buffer 1
		.amdhsa_user_sgpr_dispatch_ptr 0
		.amdhsa_user_sgpr_queue_ptr 0
		.amdhsa_user_sgpr_kernarg_segment_ptr 1
		.amdhsa_user_sgpr_dispatch_id 0
		.amdhsa_user_sgpr_flat_scratch_init 1
		.amdhsa_user_sgpr_kernarg_preload_length 0
		.amdhsa_user_sgpr_kernarg_preload_offset 0
		.amdhsa_user_sgpr_private_segment_size 0
		.amdhsa_uses_dynamic_stack 0
		.amdhsa_system_sgpr_private_segment_wavefront_offset 1
		.amdhsa_system_sgpr_workgroup_id_x 1
		.amdhsa_system_sgpr_workgroup_id_y 0
		.amdhsa_system_sgpr_workgroup_id_z 0
		.amdhsa_system_sgpr_workgroup_info 0
		.amdhsa_system_vgpr_workitem_id 0
		.amdhsa_next_free_vgpr 74
		.amdhsa_next_free_sgpr 88
		.amdhsa_accum_offset 76
		.amdhsa_reserve_vcc 1
		.amdhsa_reserve_flat_scratch 1
		.amdhsa_float_round_mode_32 0
		.amdhsa_float_round_mode_16_64 0
		.amdhsa_float_denorm_mode_32 3
		.amdhsa_float_denorm_mode_16_64 3
		.amdhsa_dx10_clamp 1
		.amdhsa_ieee_mode 1
		.amdhsa_fp16_overflow 0
		.amdhsa_tg_split 0
		.amdhsa_exception_fp_ieee_invalid_op 0
		.amdhsa_exception_fp_denorm_src 0
		.amdhsa_exception_fp_ieee_div_zero 0
		.amdhsa_exception_fp_ieee_overflow 0
		.amdhsa_exception_fp_ieee_underflow 0
		.amdhsa_exception_fp_ieee_inexact 0
		.amdhsa_exception_int_div_zero 0
	.end_amdhsa_kernel
	.section	.text._ZN2ck16tensor_operation6device12_GLOBAL__N_137kernel_grouped_conv_fwd_dl_multiple_dINS_32GridwiseGemmDlMultipleD_km_kn_mnILi256EaiNS_5TupleIJaEEEaNS0_12element_wise11PassThroughES8_NS7_7AddReluELNS_25InMemoryDataOperationEnumE0ENS_16TensorDescriptorINS5_IJNS_5EmbedINS5_IJiiiiiEEESD_Lb0EEENS_11PassThroughIiEENS_3PadIiiiLb0EEESI_SI_SG_SG_NSC_INS5_IJiiEEESJ_Lb0EEESK_SK_SG_NS_23Merge_v2_magic_divisionINS5_IJiiiiEEEEESN_NS_8RightPadIiiLb0EEESP_NS_7UnMergeISJ_Lb0EEESG_EEENS5_IJNS_8SequenceIJLi0EEEENST_IJLi1EEEENST_IJLi2EEEENST_IJLi3EEEENST_IJLi4EEEENST_IJLi5EEEENST_IJLi6EEEENST_IJLi7EEEENST_IJLi8EEEENST_IJLi9EEEENST_IJLi10EEEENST_IJLi11ELi13ELi15ELi17EEEENST_IJLi12ELi14ELi16ELi18EEEENST_IJLi19EEEENST_IJLi20EEEENST_IJLi22EEEENST_IJLi21EEEEEEENS5_IJNST_IJLi1ELi2ELi3ELi4ELi5EEEES10_S11_S12_S13_S14_NST_IJLi11EEEENST_IJLi12ELi13EEEENST_IJLi14ELi15EEEENST_IJLi16ELi17EEEENST_IJLi18EEEES17_S18_S1A_S19_NST_IJLi23ELi24EEEENST_IJLi25EEEEEEENST_IJLi23ELi25ELi24EEEElEENSB_INS5_IJSR_SP_SP_SR_SG_EEENS5_IJSU_SV_SW_SY_SX_EEENS5_IJNST_IJLi1ELi2EEEESX_SY_NST_IJLi5ELi6EEEES11_EEENST_IJLi5ELi7ELi6EEEElEENSB_INS5_IJSK_SP_SP_EEENS5_IJSU_SV_SW_EEENS5_IJS1P_SX_SY_EEENST_IJLi3ELi4EEEElEELi128ELi128ELi16ELi4ELi4ELi4ELi1ENST_IJLi8ELi2EEEES1Z_NST_IJLi8ELi1ELi1ELi4EEEENST_IJLi2ELi1ELi128ELi1EEEENST_IJLi1ELi2ELi0ELi3EEEES22_NST_IJLi4ELi1ELi1ELi4EEEES22_NST_IJLi1ELi1ELi1ELi4EEEES20_S21_S22_S22_S23_S22_S24_NST_IJLi0ELi1ELi2ELi3ELi4ELi5EEEELi5ELi4EEEaNS5_IJPKaEEEaS8_S8_S9_NSB_INS5_IJSE_SG_SI_SI_SI_SG_SG_SK_SK_SK_SG_SN_SN_SP_SP_SR_SG_SG_NSQ_INS5_IJiNS_17integral_constantIiLi128EEEEEELb0EEENSF_INS2A_IiLi4EEEEEEEENS5_IJSU_SV_SW_SX_SY_SZ_S10_S11_S12_S13_S14_S15_S16_S17_S18_S19_S1A_NST_IJLi23EEEES1J_NST_IJLi24EEEEEEENS5_IJS1C_S10_S11_S12_S13_S14_S1D_S1E_S1F_S1G_S1H_S17_S18_S1A_S19_S1I_S1J_NST_IJLi26EEEENST_IJLi27ELi28EEEENST_IJLi29EEEEEEENST_IJLi26ELi27ELi28ELi29EEEElEENSB_INS5_IJSR_SP_SP_SR_SG_SG_S2D_S2F_EEENS5_IJSU_SV_SW_SY_SX_SZ_S11_S10_EEENS5_IJS1P_SX_SY_S1Q_S11_S12_NST_IJLi9ELi10EEEES1D_EEENST_IJLi8ELi9ELi10ELi11EEEElEENS5_IJNSB_INS5_IJSK_SP_SP_NSQ_INS5_IJiNS2A_IiLi2EEENS2A_IiLi64EEEEEELb0EEES2Z_EEENS5_IJSU_SV_SW_SX_SY_EEENS5_IJS1P_SX_SY_NST_IJLi5ELi6ELi7EEEENST_IJLi8ELi9ELi10EEEEEEENST_IJLi5ELi6ELi7ELi8ELi9ELi10EEEElEEEEES36_NS_31BlockToCTileMap_M00_N00_M01_N01ILi128ELi128ES1Y_Lb0EEENS1_30ComputePtrOffsetOfStridedBatchILi1ELi1ELi1EvEELb0ELb1EEEvPKT0_S3E_T1_PT2_T3_T4_T5_iT6_T7_T8_T9_T10_T11_,"axG",@progbits,_ZN2ck16tensor_operation6device12_GLOBAL__N_137kernel_grouped_conv_fwd_dl_multiple_dINS_32GridwiseGemmDlMultipleD_km_kn_mnILi256EaiNS_5TupleIJaEEEaNS0_12element_wise11PassThroughES8_NS7_7AddReluELNS_25InMemoryDataOperationEnumE0ENS_16TensorDescriptorINS5_IJNS_5EmbedINS5_IJiiiiiEEESD_Lb0EEENS_11PassThroughIiEENS_3PadIiiiLb0EEESI_SI_SG_SG_NSC_INS5_IJiiEEESJ_Lb0EEESK_SK_SG_NS_23Merge_v2_magic_divisionINS5_IJiiiiEEEEESN_NS_8RightPadIiiLb0EEESP_NS_7UnMergeISJ_Lb0EEESG_EEENS5_IJNS_8SequenceIJLi0EEEENST_IJLi1EEEENST_IJLi2EEEENST_IJLi3EEEENST_IJLi4EEEENST_IJLi5EEEENST_IJLi6EEEENST_IJLi7EEEENST_IJLi8EEEENST_IJLi9EEEENST_IJLi10EEEENST_IJLi11ELi13ELi15ELi17EEEENST_IJLi12ELi14ELi16ELi18EEEENST_IJLi19EEEENST_IJLi20EEEENST_IJLi22EEEENST_IJLi21EEEEEEENS5_IJNST_IJLi1ELi2ELi3ELi4ELi5EEEES10_S11_S12_S13_S14_NST_IJLi11EEEENST_IJLi12ELi13EEEENST_IJLi14ELi15EEEENST_IJLi16ELi17EEEENST_IJLi18EEEES17_S18_S1A_S19_NST_IJLi23ELi24EEEENST_IJLi25EEEEEEENST_IJLi23ELi25ELi24EEEElEENSB_INS5_IJSR_SP_SP_SR_SG_EEENS5_IJSU_SV_SW_SY_SX_EEENS5_IJNST_IJLi1ELi2EEEESX_SY_NST_IJLi5ELi6EEEES11_EEENST_IJLi5ELi7ELi6EEEElEENSB_INS5_IJSK_SP_SP_EEENS5_IJSU_SV_SW_EEENS5_IJS1P_SX_SY_EEENST_IJLi3ELi4EEEElEELi128ELi128ELi16ELi4ELi4ELi4ELi1ENST_IJLi8ELi2EEEES1Z_NST_IJLi8ELi1ELi1ELi4EEEENST_IJLi2ELi1ELi128ELi1EEEENST_IJLi1ELi2ELi0ELi3EEEES22_NST_IJLi4ELi1ELi1ELi4EEEES22_NST_IJLi1ELi1ELi1ELi4EEEES20_S21_S22_S22_S23_S22_S24_NST_IJLi0ELi1ELi2ELi3ELi4ELi5EEEELi5ELi4EEEaNS5_IJPKaEEEaS8_S8_S9_NSB_INS5_IJSE_SG_SI_SI_SI_SG_SG_SK_SK_SK_SG_SN_SN_SP_SP_SR_SG_SG_NSQ_INS5_IJiNS_17integral_constantIiLi128EEEEEELb0EEENSF_INS2A_IiLi4EEEEEEEENS5_IJSU_SV_SW_SX_SY_SZ_S10_S11_S12_S13_S14_S15_S16_S17_S18_S19_S1A_NST_IJLi23EEEES1J_NST_IJLi24EEEEEEENS5_IJS1C_S10_S11_S12_S13_S14_S1D_S1E_S1F_S1G_S1H_S17_S18_S1A_S19_S1I_S1J_NST_IJLi26EEEENST_IJLi27ELi28EEEENST_IJLi29EEEEEEENST_IJLi26ELi27ELi28ELi29EEEElEENSB_INS5_IJSR_SP_SP_SR_SG_SG_S2D_S2F_EEENS5_IJSU_SV_SW_SY_SX_SZ_S11_S10_EEENS5_IJS1P_SX_SY_S1Q_S11_S12_NST_IJLi9ELi10EEEES1D_EEENST_IJLi8ELi9ELi10ELi11EEEElEENS5_IJNSB_INS5_IJSK_SP_SP_NSQ_INS5_IJiNS2A_IiLi2EEENS2A_IiLi64EEEEEELb0EEES2Z_EEENS5_IJSU_SV_SW_SX_SY_EEENS5_IJS1P_SX_SY_NST_IJLi5ELi6ELi7EEEENST_IJLi8ELi9ELi10EEEEEEENST_IJLi5ELi6ELi7ELi8ELi9ELi10EEEElEEEEES36_NS_31BlockToCTileMap_M00_N00_M01_N01ILi128ELi128ES1Y_Lb0EEENS1_30ComputePtrOffsetOfStridedBatchILi1ELi1ELi1EvEELb0ELb1EEEvPKT0_S3E_T1_PT2_T3_T4_T5_iT6_T7_T8_T9_T10_T11_,comdat
.Lfunc_end12:
	.size	_ZN2ck16tensor_operation6device12_GLOBAL__N_137kernel_grouped_conv_fwd_dl_multiple_dINS_32GridwiseGemmDlMultipleD_km_kn_mnILi256EaiNS_5TupleIJaEEEaNS0_12element_wise11PassThroughES8_NS7_7AddReluELNS_25InMemoryDataOperationEnumE0ENS_16TensorDescriptorINS5_IJNS_5EmbedINS5_IJiiiiiEEESD_Lb0EEENS_11PassThroughIiEENS_3PadIiiiLb0EEESI_SI_SG_SG_NSC_INS5_IJiiEEESJ_Lb0EEESK_SK_SG_NS_23Merge_v2_magic_divisionINS5_IJiiiiEEEEESN_NS_8RightPadIiiLb0EEESP_NS_7UnMergeISJ_Lb0EEESG_EEENS5_IJNS_8SequenceIJLi0EEEENST_IJLi1EEEENST_IJLi2EEEENST_IJLi3EEEENST_IJLi4EEEENST_IJLi5EEEENST_IJLi6EEEENST_IJLi7EEEENST_IJLi8EEEENST_IJLi9EEEENST_IJLi10EEEENST_IJLi11ELi13ELi15ELi17EEEENST_IJLi12ELi14ELi16ELi18EEEENST_IJLi19EEEENST_IJLi20EEEENST_IJLi22EEEENST_IJLi21EEEEEEENS5_IJNST_IJLi1ELi2ELi3ELi4ELi5EEEES10_S11_S12_S13_S14_NST_IJLi11EEEENST_IJLi12ELi13EEEENST_IJLi14ELi15EEEENST_IJLi16ELi17EEEENST_IJLi18EEEES17_S18_S1A_S19_NST_IJLi23ELi24EEEENST_IJLi25EEEEEEENST_IJLi23ELi25ELi24EEEElEENSB_INS5_IJSR_SP_SP_SR_SG_EEENS5_IJSU_SV_SW_SY_SX_EEENS5_IJNST_IJLi1ELi2EEEESX_SY_NST_IJLi5ELi6EEEES11_EEENST_IJLi5ELi7ELi6EEEElEENSB_INS5_IJSK_SP_SP_EEENS5_IJSU_SV_SW_EEENS5_IJS1P_SX_SY_EEENST_IJLi3ELi4EEEElEELi128ELi128ELi16ELi4ELi4ELi4ELi1ENST_IJLi8ELi2EEEES1Z_NST_IJLi8ELi1ELi1ELi4EEEENST_IJLi2ELi1ELi128ELi1EEEENST_IJLi1ELi2ELi0ELi3EEEES22_NST_IJLi4ELi1ELi1ELi4EEEES22_NST_IJLi1ELi1ELi1ELi4EEEES20_S21_S22_S22_S23_S22_S24_NST_IJLi0ELi1ELi2ELi3ELi4ELi5EEEELi5ELi4EEEaNS5_IJPKaEEEaS8_S8_S9_NSB_INS5_IJSE_SG_SI_SI_SI_SG_SG_SK_SK_SK_SG_SN_SN_SP_SP_SR_SG_SG_NSQ_INS5_IJiNS_17integral_constantIiLi128EEEEEELb0EEENSF_INS2A_IiLi4EEEEEEEENS5_IJSU_SV_SW_SX_SY_SZ_S10_S11_S12_S13_S14_S15_S16_S17_S18_S19_S1A_NST_IJLi23EEEES1J_NST_IJLi24EEEEEEENS5_IJS1C_S10_S11_S12_S13_S14_S1D_S1E_S1F_S1G_S1H_S17_S18_S1A_S19_S1I_S1J_NST_IJLi26EEEENST_IJLi27ELi28EEEENST_IJLi29EEEEEEENST_IJLi26ELi27ELi28ELi29EEEElEENSB_INS5_IJSR_SP_SP_SR_SG_SG_S2D_S2F_EEENS5_IJSU_SV_SW_SY_SX_SZ_S11_S10_EEENS5_IJS1P_SX_SY_S1Q_S11_S12_NST_IJLi9ELi10EEEES1D_EEENST_IJLi8ELi9ELi10ELi11EEEElEENS5_IJNSB_INS5_IJSK_SP_SP_NSQ_INS5_IJiNS2A_IiLi2EEENS2A_IiLi64EEEEEELb0EEES2Z_EEENS5_IJSU_SV_SW_SX_SY_EEENS5_IJS1P_SX_SY_NST_IJLi5ELi6ELi7EEEENST_IJLi8ELi9ELi10EEEEEEENST_IJLi5ELi6ELi7ELi8ELi9ELi10EEEElEEEEES36_NS_31BlockToCTileMap_M00_N00_M01_N01ILi128ELi128ES1Y_Lb0EEENS1_30ComputePtrOffsetOfStridedBatchILi1ELi1ELi1EvEELb0ELb1EEEvPKT0_S3E_T1_PT2_T3_T4_T5_iT6_T7_T8_T9_T10_T11_, .Lfunc_end12-_ZN2ck16tensor_operation6device12_GLOBAL__N_137kernel_grouped_conv_fwd_dl_multiple_dINS_32GridwiseGemmDlMultipleD_km_kn_mnILi256EaiNS_5TupleIJaEEEaNS0_12element_wise11PassThroughES8_NS7_7AddReluELNS_25InMemoryDataOperationEnumE0ENS_16TensorDescriptorINS5_IJNS_5EmbedINS5_IJiiiiiEEESD_Lb0EEENS_11PassThroughIiEENS_3PadIiiiLb0EEESI_SI_SG_SG_NSC_INS5_IJiiEEESJ_Lb0EEESK_SK_SG_NS_23Merge_v2_magic_divisionINS5_IJiiiiEEEEESN_NS_8RightPadIiiLb0EEESP_NS_7UnMergeISJ_Lb0EEESG_EEENS5_IJNS_8SequenceIJLi0EEEENST_IJLi1EEEENST_IJLi2EEEENST_IJLi3EEEENST_IJLi4EEEENST_IJLi5EEEENST_IJLi6EEEENST_IJLi7EEEENST_IJLi8EEEENST_IJLi9EEEENST_IJLi10EEEENST_IJLi11ELi13ELi15ELi17EEEENST_IJLi12ELi14ELi16ELi18EEEENST_IJLi19EEEENST_IJLi20EEEENST_IJLi22EEEENST_IJLi21EEEEEEENS5_IJNST_IJLi1ELi2ELi3ELi4ELi5EEEES10_S11_S12_S13_S14_NST_IJLi11EEEENST_IJLi12ELi13EEEENST_IJLi14ELi15EEEENST_IJLi16ELi17EEEENST_IJLi18EEEES17_S18_S1A_S19_NST_IJLi23ELi24EEEENST_IJLi25EEEEEEENST_IJLi23ELi25ELi24EEEElEENSB_INS5_IJSR_SP_SP_SR_SG_EEENS5_IJSU_SV_SW_SY_SX_EEENS5_IJNST_IJLi1ELi2EEEESX_SY_NST_IJLi5ELi6EEEES11_EEENST_IJLi5ELi7ELi6EEEElEENSB_INS5_IJSK_SP_SP_EEENS5_IJSU_SV_SW_EEENS5_IJS1P_SX_SY_EEENST_IJLi3ELi4EEEElEELi128ELi128ELi16ELi4ELi4ELi4ELi1ENST_IJLi8ELi2EEEES1Z_NST_IJLi8ELi1ELi1ELi4EEEENST_IJLi2ELi1ELi128ELi1EEEENST_IJLi1ELi2ELi0ELi3EEEES22_NST_IJLi4ELi1ELi1ELi4EEEES22_NST_IJLi1ELi1ELi1ELi4EEEES20_S21_S22_S22_S23_S22_S24_NST_IJLi0ELi1ELi2ELi3ELi4ELi5EEEELi5ELi4EEEaNS5_IJPKaEEEaS8_S8_S9_NSB_INS5_IJSE_SG_SI_SI_SI_SG_SG_SK_SK_SK_SG_SN_SN_SP_SP_SR_SG_SG_NSQ_INS5_IJiNS_17integral_constantIiLi128EEEEEELb0EEENSF_INS2A_IiLi4EEEEEEEENS5_IJSU_SV_SW_SX_SY_SZ_S10_S11_S12_S13_S14_S15_S16_S17_S18_S19_S1A_NST_IJLi23EEEES1J_NST_IJLi24EEEEEEENS5_IJS1C_S10_S11_S12_S13_S14_S1D_S1E_S1F_S1G_S1H_S17_S18_S1A_S19_S1I_S1J_NST_IJLi26EEEENST_IJLi27ELi28EEEENST_IJLi29EEEEEEENST_IJLi26ELi27ELi28ELi29EEEElEENSB_INS5_IJSR_SP_SP_SR_SG_SG_S2D_S2F_EEENS5_IJSU_SV_SW_SY_SX_SZ_S11_S10_EEENS5_IJS1P_SX_SY_S1Q_S11_S12_NST_IJLi9ELi10EEEES1D_EEENST_IJLi8ELi9ELi10ELi11EEEElEENS5_IJNSB_INS5_IJSK_SP_SP_NSQ_INS5_IJiNS2A_IiLi2EEENS2A_IiLi64EEEEEELb0EEES2Z_EEENS5_IJSU_SV_SW_SX_SY_EEENS5_IJS1P_SX_SY_NST_IJLi5ELi6ELi7EEEENST_IJLi8ELi9ELi10EEEEEEENST_IJLi5ELi6ELi7ELi8ELi9ELi10EEEElEEEEES36_NS_31BlockToCTileMap_M00_N00_M01_N01ILi128ELi128ES1Y_Lb0EEENS1_30ComputePtrOffsetOfStridedBatchILi1ELi1ELi1EvEELb0ELb1EEEvPKT0_S3E_T1_PT2_T3_T4_T5_iT6_T7_T8_T9_T10_T11_
                                        ; -- End function
	.section	.AMDGPU.csdata,"",@progbits
; Kernel info:
; codeLenInByte = 11864
; NumSgprs: 94
; NumVgprs: 74
; NumAgprs: 0
; TotalNumVgprs: 74
; ScratchSize: 480
; MemoryBound: 0
; FloatMode: 240
; IeeeMode: 1
; LDSByteSize: 32768 bytes/workgroup (compile time only)
; SGPRBlocks: 11
; VGPRBlocks: 9
; NumSGPRsForWavesPerEU: 94
; NumVGPRsForWavesPerEU: 74
; AccumOffset: 76
; Occupancy: 2
; WaveLimiterHint : 1
; COMPUTE_PGM_RSRC2:SCRATCH_EN: 1
; COMPUTE_PGM_RSRC2:USER_SGPR: 8
; COMPUTE_PGM_RSRC2:TRAP_HANDLER: 0
; COMPUTE_PGM_RSRC2:TGID_X_EN: 1
; COMPUTE_PGM_RSRC2:TGID_Y_EN: 0
; COMPUTE_PGM_RSRC2:TGID_Z_EN: 0
; COMPUTE_PGM_RSRC2:TIDIG_COMP_CNT: 0
; COMPUTE_PGM_RSRC3_GFX90A:ACCUM_OFFSET: 18
; COMPUTE_PGM_RSRC3_GFX90A:TG_SPLIT: 0
	.section	.text._ZN2ck16tensor_operation6device12_GLOBAL__N_137kernel_grouped_conv_fwd_dl_multiple_dINS_32GridwiseGemmDlMultipleD_km_kn_mnILi256EaiNS_5TupleIJaEEEaNS0_12element_wise11PassThroughES8_NS7_7AddReluELNS_25InMemoryDataOperationEnumE0ENS_16TensorDescriptorINS5_IJNS_5EmbedINS5_IJiiiiiEEESD_Lb0EEENS_11PassThroughIiEENS_3PadIiiiLb0EEESI_SI_SG_SG_NSC_INS5_IJiiEEESJ_Lb0EEESK_SK_SG_NS_23Merge_v2_magic_divisionINS5_IJiiiiEEEEESN_NS_8RightPadIiiLb0EEESP_NS_7UnMergeISJ_Lb0EEESG_EEENS5_IJNS_8SequenceIJLi0EEEENST_IJLi1EEEENST_IJLi2EEEENST_IJLi3EEEENST_IJLi4EEEENST_IJLi5EEEENST_IJLi6EEEENST_IJLi7EEEENST_IJLi8EEEENST_IJLi9EEEENST_IJLi10EEEENST_IJLi11ELi13ELi15ELi17EEEENST_IJLi12ELi14ELi16ELi18EEEENST_IJLi19EEEENST_IJLi20EEEENST_IJLi22EEEENST_IJLi21EEEEEEENS5_IJNST_IJLi1ELi2ELi3ELi4ELi5EEEES10_S11_S12_S13_S14_NST_IJLi11EEEENST_IJLi12ELi13EEEENST_IJLi14ELi15EEEENST_IJLi16ELi17EEEENST_IJLi18EEEES17_S18_S1A_S19_NST_IJLi23ELi24EEEENST_IJLi25EEEEEEENST_IJLi23ELi25ELi24EEEElEENSB_INS5_IJSR_SP_SP_SR_SG_EEENS5_IJSU_SV_SW_SY_SX_EEENS5_IJNST_IJLi1ELi2EEEESX_SY_NST_IJLi5ELi6EEEES11_EEENST_IJLi5ELi7ELi6EEEElEENSB_INS5_IJSK_SP_SP_EEENS5_IJSU_SV_SW_EEENS5_IJS1P_SX_SY_EEENST_IJLi3ELi4EEEElEELi128ELi128ELi16ELi4ELi4ELi4ELi1ENST_IJLi8ELi2EEEES1Z_NST_IJLi8ELi1ELi1ELi4EEEENST_IJLi2ELi1ELi128ELi1EEEENST_IJLi1ELi2ELi0ELi3EEEES22_NST_IJLi4ELi1ELi1ELi4EEEES22_NST_IJLi1ELi1ELi1ELi4EEEES20_S21_S22_S22_S23_S22_S24_NST_IJLi0ELi1ELi2ELi3ELi4ELi5EEEELi5ELi4EEEaNS5_IJPKaEEEaS8_S8_S9_NSB_INS5_IJSE_SG_SI_SI_SI_SG_SG_SK_SK_SK_SG_SN_SN_SP_SP_SR_SG_SG_NSQ_INS5_IJiNS_17integral_constantIiLi128EEEEEELb0EEENSF_INS2A_IiLi4EEEEEEEENS5_IJSU_SV_SW_SX_SY_SZ_S10_S11_S12_S13_S14_S15_S16_S17_S18_S19_S1A_NST_IJLi23EEEES1J_NST_IJLi24EEEEEEENS5_IJS1C_S10_S11_S12_S13_S14_S1D_S1E_S1F_S1G_S1H_S17_S18_S1A_S19_S1I_S1J_NST_IJLi26EEEENST_IJLi27ELi28EEEENST_IJLi29EEEEEEENST_IJLi26ELi27ELi28ELi29EEEElEENSB_INS5_IJSR_SP_SP_SR_SG_SG_S2D_S2F_EEENS5_IJSU_SV_SW_SY_SX_SZ_S11_S10_EEENS5_IJS1P_SX_SY_S1Q_S11_S12_NST_IJLi9ELi10EEEES1D_EEENST_IJLi8ELi9ELi10ELi11EEEElEENS5_IJNSB_INS5_IJSK_SP_SP_NSQ_INS5_IJiNS2A_IiLi2EEENS2A_IiLi64EEEEEELb0EEES2Z_EEENS5_IJSU_SV_SW_SX_SY_EEENS5_IJS1P_SX_SY_NST_IJLi5ELi6ELi7EEEENST_IJLi8ELi9ELi10EEEEEEENST_IJLi5ELi6ELi7ELi8ELi9ELi10EEEElEEEEES36_NS_31BlockToCTileMap_M00_N00_M01_N01ILi128ELi128ES1Y_Lb0EEENS1_30ComputePtrOffsetOfStridedBatchILi1ELi1ELi1EvEELb0ELb0EEEvPKT0_S3E_T1_PT2_T3_T4_T5_iT6_T7_T8_T9_T10_T11_,"axG",@progbits,_ZN2ck16tensor_operation6device12_GLOBAL__N_137kernel_grouped_conv_fwd_dl_multiple_dINS_32GridwiseGemmDlMultipleD_km_kn_mnILi256EaiNS_5TupleIJaEEEaNS0_12element_wise11PassThroughES8_NS7_7AddReluELNS_25InMemoryDataOperationEnumE0ENS_16TensorDescriptorINS5_IJNS_5EmbedINS5_IJiiiiiEEESD_Lb0EEENS_11PassThroughIiEENS_3PadIiiiLb0EEESI_SI_SG_SG_NSC_INS5_IJiiEEESJ_Lb0EEESK_SK_SG_NS_23Merge_v2_magic_divisionINS5_IJiiiiEEEEESN_NS_8RightPadIiiLb0EEESP_NS_7UnMergeISJ_Lb0EEESG_EEENS5_IJNS_8SequenceIJLi0EEEENST_IJLi1EEEENST_IJLi2EEEENST_IJLi3EEEENST_IJLi4EEEENST_IJLi5EEEENST_IJLi6EEEENST_IJLi7EEEENST_IJLi8EEEENST_IJLi9EEEENST_IJLi10EEEENST_IJLi11ELi13ELi15ELi17EEEENST_IJLi12ELi14ELi16ELi18EEEENST_IJLi19EEEENST_IJLi20EEEENST_IJLi22EEEENST_IJLi21EEEEEEENS5_IJNST_IJLi1ELi2ELi3ELi4ELi5EEEES10_S11_S12_S13_S14_NST_IJLi11EEEENST_IJLi12ELi13EEEENST_IJLi14ELi15EEEENST_IJLi16ELi17EEEENST_IJLi18EEEES17_S18_S1A_S19_NST_IJLi23ELi24EEEENST_IJLi25EEEEEEENST_IJLi23ELi25ELi24EEEElEENSB_INS5_IJSR_SP_SP_SR_SG_EEENS5_IJSU_SV_SW_SY_SX_EEENS5_IJNST_IJLi1ELi2EEEESX_SY_NST_IJLi5ELi6EEEES11_EEENST_IJLi5ELi7ELi6EEEElEENSB_INS5_IJSK_SP_SP_EEENS5_IJSU_SV_SW_EEENS5_IJS1P_SX_SY_EEENST_IJLi3ELi4EEEElEELi128ELi128ELi16ELi4ELi4ELi4ELi1ENST_IJLi8ELi2EEEES1Z_NST_IJLi8ELi1ELi1ELi4EEEENST_IJLi2ELi1ELi128ELi1EEEENST_IJLi1ELi2ELi0ELi3EEEES22_NST_IJLi4ELi1ELi1ELi4EEEES22_NST_IJLi1ELi1ELi1ELi4EEEES20_S21_S22_S22_S23_S22_S24_NST_IJLi0ELi1ELi2ELi3ELi4ELi5EEEELi5ELi4EEEaNS5_IJPKaEEEaS8_S8_S9_NSB_INS5_IJSE_SG_SI_SI_SI_SG_SG_SK_SK_SK_SG_SN_SN_SP_SP_SR_SG_SG_NSQ_INS5_IJiNS_17integral_constantIiLi128EEEEEELb0EEENSF_INS2A_IiLi4EEEEEEEENS5_IJSU_SV_SW_SX_SY_SZ_S10_S11_S12_S13_S14_S15_S16_S17_S18_S19_S1A_NST_IJLi23EEEES1J_NST_IJLi24EEEEEEENS5_IJS1C_S10_S11_S12_S13_S14_S1D_S1E_S1F_S1G_S1H_S17_S18_S1A_S19_S1I_S1J_NST_IJLi26EEEENST_IJLi27ELi28EEEENST_IJLi29EEEEEEENST_IJLi26ELi27ELi28ELi29EEEElEENSB_INS5_IJSR_SP_SP_SR_SG_SG_S2D_S2F_EEENS5_IJSU_SV_SW_SY_SX_SZ_S11_S10_EEENS5_IJS1P_SX_SY_S1Q_S11_S12_NST_IJLi9ELi10EEEES1D_EEENST_IJLi8ELi9ELi10ELi11EEEElEENS5_IJNSB_INS5_IJSK_SP_SP_NSQ_INS5_IJiNS2A_IiLi2EEENS2A_IiLi64EEEEEELb0EEES2Z_EEENS5_IJSU_SV_SW_SX_SY_EEENS5_IJS1P_SX_SY_NST_IJLi5ELi6ELi7EEEENST_IJLi8ELi9ELi10EEEEEEENST_IJLi5ELi6ELi7ELi8ELi9ELi10EEEElEEEEES36_NS_31BlockToCTileMap_M00_N00_M01_N01ILi128ELi128ES1Y_Lb0EEENS1_30ComputePtrOffsetOfStridedBatchILi1ELi1ELi1EvEELb0ELb0EEEvPKT0_S3E_T1_PT2_T3_T4_T5_iT6_T7_T8_T9_T10_T11_,comdat
	.globl	_ZN2ck16tensor_operation6device12_GLOBAL__N_137kernel_grouped_conv_fwd_dl_multiple_dINS_32GridwiseGemmDlMultipleD_km_kn_mnILi256EaiNS_5TupleIJaEEEaNS0_12element_wise11PassThroughES8_NS7_7AddReluELNS_25InMemoryDataOperationEnumE0ENS_16TensorDescriptorINS5_IJNS_5EmbedINS5_IJiiiiiEEESD_Lb0EEENS_11PassThroughIiEENS_3PadIiiiLb0EEESI_SI_SG_SG_NSC_INS5_IJiiEEESJ_Lb0EEESK_SK_SG_NS_23Merge_v2_magic_divisionINS5_IJiiiiEEEEESN_NS_8RightPadIiiLb0EEESP_NS_7UnMergeISJ_Lb0EEESG_EEENS5_IJNS_8SequenceIJLi0EEEENST_IJLi1EEEENST_IJLi2EEEENST_IJLi3EEEENST_IJLi4EEEENST_IJLi5EEEENST_IJLi6EEEENST_IJLi7EEEENST_IJLi8EEEENST_IJLi9EEEENST_IJLi10EEEENST_IJLi11ELi13ELi15ELi17EEEENST_IJLi12ELi14ELi16ELi18EEEENST_IJLi19EEEENST_IJLi20EEEENST_IJLi22EEEENST_IJLi21EEEEEEENS5_IJNST_IJLi1ELi2ELi3ELi4ELi5EEEES10_S11_S12_S13_S14_NST_IJLi11EEEENST_IJLi12ELi13EEEENST_IJLi14ELi15EEEENST_IJLi16ELi17EEEENST_IJLi18EEEES17_S18_S1A_S19_NST_IJLi23ELi24EEEENST_IJLi25EEEEEEENST_IJLi23ELi25ELi24EEEElEENSB_INS5_IJSR_SP_SP_SR_SG_EEENS5_IJSU_SV_SW_SY_SX_EEENS5_IJNST_IJLi1ELi2EEEESX_SY_NST_IJLi5ELi6EEEES11_EEENST_IJLi5ELi7ELi6EEEElEENSB_INS5_IJSK_SP_SP_EEENS5_IJSU_SV_SW_EEENS5_IJS1P_SX_SY_EEENST_IJLi3ELi4EEEElEELi128ELi128ELi16ELi4ELi4ELi4ELi1ENST_IJLi8ELi2EEEES1Z_NST_IJLi8ELi1ELi1ELi4EEEENST_IJLi2ELi1ELi128ELi1EEEENST_IJLi1ELi2ELi0ELi3EEEES22_NST_IJLi4ELi1ELi1ELi4EEEES22_NST_IJLi1ELi1ELi1ELi4EEEES20_S21_S22_S22_S23_S22_S24_NST_IJLi0ELi1ELi2ELi3ELi4ELi5EEEELi5ELi4EEEaNS5_IJPKaEEEaS8_S8_S9_NSB_INS5_IJSE_SG_SI_SI_SI_SG_SG_SK_SK_SK_SG_SN_SN_SP_SP_SR_SG_SG_NSQ_INS5_IJiNS_17integral_constantIiLi128EEEEEELb0EEENSF_INS2A_IiLi4EEEEEEEENS5_IJSU_SV_SW_SX_SY_SZ_S10_S11_S12_S13_S14_S15_S16_S17_S18_S19_S1A_NST_IJLi23EEEES1J_NST_IJLi24EEEEEEENS5_IJS1C_S10_S11_S12_S13_S14_S1D_S1E_S1F_S1G_S1H_S17_S18_S1A_S19_S1I_S1J_NST_IJLi26EEEENST_IJLi27ELi28EEEENST_IJLi29EEEEEEENST_IJLi26ELi27ELi28ELi29EEEElEENSB_INS5_IJSR_SP_SP_SR_SG_SG_S2D_S2F_EEENS5_IJSU_SV_SW_SY_SX_SZ_S11_S10_EEENS5_IJS1P_SX_SY_S1Q_S11_S12_NST_IJLi9ELi10EEEES1D_EEENST_IJLi8ELi9ELi10ELi11EEEElEENS5_IJNSB_INS5_IJSK_SP_SP_NSQ_INS5_IJiNS2A_IiLi2EEENS2A_IiLi64EEEEEELb0EEES2Z_EEENS5_IJSU_SV_SW_SX_SY_EEENS5_IJS1P_SX_SY_NST_IJLi5ELi6ELi7EEEENST_IJLi8ELi9ELi10EEEEEEENST_IJLi5ELi6ELi7ELi8ELi9ELi10EEEElEEEEES36_NS_31BlockToCTileMap_M00_N00_M01_N01ILi128ELi128ES1Y_Lb0EEENS1_30ComputePtrOffsetOfStridedBatchILi1ELi1ELi1EvEELb0ELb0EEEvPKT0_S3E_T1_PT2_T3_T4_T5_iT6_T7_T8_T9_T10_T11_ ; -- Begin function _ZN2ck16tensor_operation6device12_GLOBAL__N_137kernel_grouped_conv_fwd_dl_multiple_dINS_32GridwiseGemmDlMultipleD_km_kn_mnILi256EaiNS_5TupleIJaEEEaNS0_12element_wise11PassThroughES8_NS7_7AddReluELNS_25InMemoryDataOperationEnumE0ENS_16TensorDescriptorINS5_IJNS_5EmbedINS5_IJiiiiiEEESD_Lb0EEENS_11PassThroughIiEENS_3PadIiiiLb0EEESI_SI_SG_SG_NSC_INS5_IJiiEEESJ_Lb0EEESK_SK_SG_NS_23Merge_v2_magic_divisionINS5_IJiiiiEEEEESN_NS_8RightPadIiiLb0EEESP_NS_7UnMergeISJ_Lb0EEESG_EEENS5_IJNS_8SequenceIJLi0EEEENST_IJLi1EEEENST_IJLi2EEEENST_IJLi3EEEENST_IJLi4EEEENST_IJLi5EEEENST_IJLi6EEEENST_IJLi7EEEENST_IJLi8EEEENST_IJLi9EEEENST_IJLi10EEEENST_IJLi11ELi13ELi15ELi17EEEENST_IJLi12ELi14ELi16ELi18EEEENST_IJLi19EEEENST_IJLi20EEEENST_IJLi22EEEENST_IJLi21EEEEEEENS5_IJNST_IJLi1ELi2ELi3ELi4ELi5EEEES10_S11_S12_S13_S14_NST_IJLi11EEEENST_IJLi12ELi13EEEENST_IJLi14ELi15EEEENST_IJLi16ELi17EEEENST_IJLi18EEEES17_S18_S1A_S19_NST_IJLi23ELi24EEEENST_IJLi25EEEEEEENST_IJLi23ELi25ELi24EEEElEENSB_INS5_IJSR_SP_SP_SR_SG_EEENS5_IJSU_SV_SW_SY_SX_EEENS5_IJNST_IJLi1ELi2EEEESX_SY_NST_IJLi5ELi6EEEES11_EEENST_IJLi5ELi7ELi6EEEElEENSB_INS5_IJSK_SP_SP_EEENS5_IJSU_SV_SW_EEENS5_IJS1P_SX_SY_EEENST_IJLi3ELi4EEEElEELi128ELi128ELi16ELi4ELi4ELi4ELi1ENST_IJLi8ELi2EEEES1Z_NST_IJLi8ELi1ELi1ELi4EEEENST_IJLi2ELi1ELi128ELi1EEEENST_IJLi1ELi2ELi0ELi3EEEES22_NST_IJLi4ELi1ELi1ELi4EEEES22_NST_IJLi1ELi1ELi1ELi4EEEES20_S21_S22_S22_S23_S22_S24_NST_IJLi0ELi1ELi2ELi3ELi4ELi5EEEELi5ELi4EEEaNS5_IJPKaEEEaS8_S8_S9_NSB_INS5_IJSE_SG_SI_SI_SI_SG_SG_SK_SK_SK_SG_SN_SN_SP_SP_SR_SG_SG_NSQ_INS5_IJiNS_17integral_constantIiLi128EEEEEELb0EEENSF_INS2A_IiLi4EEEEEEEENS5_IJSU_SV_SW_SX_SY_SZ_S10_S11_S12_S13_S14_S15_S16_S17_S18_S19_S1A_NST_IJLi23EEEES1J_NST_IJLi24EEEEEEENS5_IJS1C_S10_S11_S12_S13_S14_S1D_S1E_S1F_S1G_S1H_S17_S18_S1A_S19_S1I_S1J_NST_IJLi26EEEENST_IJLi27ELi28EEEENST_IJLi29EEEEEEENST_IJLi26ELi27ELi28ELi29EEEElEENSB_INS5_IJSR_SP_SP_SR_SG_SG_S2D_S2F_EEENS5_IJSU_SV_SW_SY_SX_SZ_S11_S10_EEENS5_IJS1P_SX_SY_S1Q_S11_S12_NST_IJLi9ELi10EEEES1D_EEENST_IJLi8ELi9ELi10ELi11EEEElEENS5_IJNSB_INS5_IJSK_SP_SP_NSQ_INS5_IJiNS2A_IiLi2EEENS2A_IiLi64EEEEEELb0EEES2Z_EEENS5_IJSU_SV_SW_SX_SY_EEENS5_IJS1P_SX_SY_NST_IJLi5ELi6ELi7EEEENST_IJLi8ELi9ELi10EEEEEEENST_IJLi5ELi6ELi7ELi8ELi9ELi10EEEElEEEEES36_NS_31BlockToCTileMap_M00_N00_M01_N01ILi128ELi128ES1Y_Lb0EEENS1_30ComputePtrOffsetOfStridedBatchILi1ELi1ELi1EvEELb0ELb0EEEvPKT0_S3E_T1_PT2_T3_T4_T5_iT6_T7_T8_T9_T10_T11_
	.p2align	8
	.type	_ZN2ck16tensor_operation6device12_GLOBAL__N_137kernel_grouped_conv_fwd_dl_multiple_dINS_32GridwiseGemmDlMultipleD_km_kn_mnILi256EaiNS_5TupleIJaEEEaNS0_12element_wise11PassThroughES8_NS7_7AddReluELNS_25InMemoryDataOperationEnumE0ENS_16TensorDescriptorINS5_IJNS_5EmbedINS5_IJiiiiiEEESD_Lb0EEENS_11PassThroughIiEENS_3PadIiiiLb0EEESI_SI_SG_SG_NSC_INS5_IJiiEEESJ_Lb0EEESK_SK_SG_NS_23Merge_v2_magic_divisionINS5_IJiiiiEEEEESN_NS_8RightPadIiiLb0EEESP_NS_7UnMergeISJ_Lb0EEESG_EEENS5_IJNS_8SequenceIJLi0EEEENST_IJLi1EEEENST_IJLi2EEEENST_IJLi3EEEENST_IJLi4EEEENST_IJLi5EEEENST_IJLi6EEEENST_IJLi7EEEENST_IJLi8EEEENST_IJLi9EEEENST_IJLi10EEEENST_IJLi11ELi13ELi15ELi17EEEENST_IJLi12ELi14ELi16ELi18EEEENST_IJLi19EEEENST_IJLi20EEEENST_IJLi22EEEENST_IJLi21EEEEEEENS5_IJNST_IJLi1ELi2ELi3ELi4ELi5EEEES10_S11_S12_S13_S14_NST_IJLi11EEEENST_IJLi12ELi13EEEENST_IJLi14ELi15EEEENST_IJLi16ELi17EEEENST_IJLi18EEEES17_S18_S1A_S19_NST_IJLi23ELi24EEEENST_IJLi25EEEEEEENST_IJLi23ELi25ELi24EEEElEENSB_INS5_IJSR_SP_SP_SR_SG_EEENS5_IJSU_SV_SW_SY_SX_EEENS5_IJNST_IJLi1ELi2EEEESX_SY_NST_IJLi5ELi6EEEES11_EEENST_IJLi5ELi7ELi6EEEElEENSB_INS5_IJSK_SP_SP_EEENS5_IJSU_SV_SW_EEENS5_IJS1P_SX_SY_EEENST_IJLi3ELi4EEEElEELi128ELi128ELi16ELi4ELi4ELi4ELi1ENST_IJLi8ELi2EEEES1Z_NST_IJLi8ELi1ELi1ELi4EEEENST_IJLi2ELi1ELi128ELi1EEEENST_IJLi1ELi2ELi0ELi3EEEES22_NST_IJLi4ELi1ELi1ELi4EEEES22_NST_IJLi1ELi1ELi1ELi4EEEES20_S21_S22_S22_S23_S22_S24_NST_IJLi0ELi1ELi2ELi3ELi4ELi5EEEELi5ELi4EEEaNS5_IJPKaEEEaS8_S8_S9_NSB_INS5_IJSE_SG_SI_SI_SI_SG_SG_SK_SK_SK_SG_SN_SN_SP_SP_SR_SG_SG_NSQ_INS5_IJiNS_17integral_constantIiLi128EEEEEELb0EEENSF_INS2A_IiLi4EEEEEEEENS5_IJSU_SV_SW_SX_SY_SZ_S10_S11_S12_S13_S14_S15_S16_S17_S18_S19_S1A_NST_IJLi23EEEES1J_NST_IJLi24EEEEEEENS5_IJS1C_S10_S11_S12_S13_S14_S1D_S1E_S1F_S1G_S1H_S17_S18_S1A_S19_S1I_S1J_NST_IJLi26EEEENST_IJLi27ELi28EEEENST_IJLi29EEEEEEENST_IJLi26ELi27ELi28ELi29EEEElEENSB_INS5_IJSR_SP_SP_SR_SG_SG_S2D_S2F_EEENS5_IJSU_SV_SW_SY_SX_SZ_S11_S10_EEENS5_IJS1P_SX_SY_S1Q_S11_S12_NST_IJLi9ELi10EEEES1D_EEENST_IJLi8ELi9ELi10ELi11EEEElEENS5_IJNSB_INS5_IJSK_SP_SP_NSQ_INS5_IJiNS2A_IiLi2EEENS2A_IiLi64EEEEEELb0EEES2Z_EEENS5_IJSU_SV_SW_SX_SY_EEENS5_IJS1P_SX_SY_NST_IJLi5ELi6ELi7EEEENST_IJLi8ELi9ELi10EEEEEEENST_IJLi5ELi6ELi7ELi8ELi9ELi10EEEElEEEEES36_NS_31BlockToCTileMap_M00_N00_M01_N01ILi128ELi128ES1Y_Lb0EEENS1_30ComputePtrOffsetOfStridedBatchILi1ELi1ELi1EvEELb0ELb0EEEvPKT0_S3E_T1_PT2_T3_T4_T5_iT6_T7_T8_T9_T10_T11_,@function
_ZN2ck16tensor_operation6device12_GLOBAL__N_137kernel_grouped_conv_fwd_dl_multiple_dINS_32GridwiseGemmDlMultipleD_km_kn_mnILi256EaiNS_5TupleIJaEEEaNS0_12element_wise11PassThroughES8_NS7_7AddReluELNS_25InMemoryDataOperationEnumE0ENS_16TensorDescriptorINS5_IJNS_5EmbedINS5_IJiiiiiEEESD_Lb0EEENS_11PassThroughIiEENS_3PadIiiiLb0EEESI_SI_SG_SG_NSC_INS5_IJiiEEESJ_Lb0EEESK_SK_SG_NS_23Merge_v2_magic_divisionINS5_IJiiiiEEEEESN_NS_8RightPadIiiLb0EEESP_NS_7UnMergeISJ_Lb0EEESG_EEENS5_IJNS_8SequenceIJLi0EEEENST_IJLi1EEEENST_IJLi2EEEENST_IJLi3EEEENST_IJLi4EEEENST_IJLi5EEEENST_IJLi6EEEENST_IJLi7EEEENST_IJLi8EEEENST_IJLi9EEEENST_IJLi10EEEENST_IJLi11ELi13ELi15ELi17EEEENST_IJLi12ELi14ELi16ELi18EEEENST_IJLi19EEEENST_IJLi20EEEENST_IJLi22EEEENST_IJLi21EEEEEEENS5_IJNST_IJLi1ELi2ELi3ELi4ELi5EEEES10_S11_S12_S13_S14_NST_IJLi11EEEENST_IJLi12ELi13EEEENST_IJLi14ELi15EEEENST_IJLi16ELi17EEEENST_IJLi18EEEES17_S18_S1A_S19_NST_IJLi23ELi24EEEENST_IJLi25EEEEEEENST_IJLi23ELi25ELi24EEEElEENSB_INS5_IJSR_SP_SP_SR_SG_EEENS5_IJSU_SV_SW_SY_SX_EEENS5_IJNST_IJLi1ELi2EEEESX_SY_NST_IJLi5ELi6EEEES11_EEENST_IJLi5ELi7ELi6EEEElEENSB_INS5_IJSK_SP_SP_EEENS5_IJSU_SV_SW_EEENS5_IJS1P_SX_SY_EEENST_IJLi3ELi4EEEElEELi128ELi128ELi16ELi4ELi4ELi4ELi1ENST_IJLi8ELi2EEEES1Z_NST_IJLi8ELi1ELi1ELi4EEEENST_IJLi2ELi1ELi128ELi1EEEENST_IJLi1ELi2ELi0ELi3EEEES22_NST_IJLi4ELi1ELi1ELi4EEEES22_NST_IJLi1ELi1ELi1ELi4EEEES20_S21_S22_S22_S23_S22_S24_NST_IJLi0ELi1ELi2ELi3ELi4ELi5EEEELi5ELi4EEEaNS5_IJPKaEEEaS8_S8_S9_NSB_INS5_IJSE_SG_SI_SI_SI_SG_SG_SK_SK_SK_SG_SN_SN_SP_SP_SR_SG_SG_NSQ_INS5_IJiNS_17integral_constantIiLi128EEEEEELb0EEENSF_INS2A_IiLi4EEEEEEEENS5_IJSU_SV_SW_SX_SY_SZ_S10_S11_S12_S13_S14_S15_S16_S17_S18_S19_S1A_NST_IJLi23EEEES1J_NST_IJLi24EEEEEEENS5_IJS1C_S10_S11_S12_S13_S14_S1D_S1E_S1F_S1G_S1H_S17_S18_S1A_S19_S1I_S1J_NST_IJLi26EEEENST_IJLi27ELi28EEEENST_IJLi29EEEEEEENST_IJLi26ELi27ELi28ELi29EEEElEENSB_INS5_IJSR_SP_SP_SR_SG_SG_S2D_S2F_EEENS5_IJSU_SV_SW_SY_SX_SZ_S11_S10_EEENS5_IJS1P_SX_SY_S1Q_S11_S12_NST_IJLi9ELi10EEEES1D_EEENST_IJLi8ELi9ELi10ELi11EEEElEENS5_IJNSB_INS5_IJSK_SP_SP_NSQ_INS5_IJiNS2A_IiLi2EEENS2A_IiLi64EEEEEELb0EEES2Z_EEENS5_IJSU_SV_SW_SX_SY_EEENS5_IJS1P_SX_SY_NST_IJLi5ELi6ELi7EEEENST_IJLi8ELi9ELi10EEEEEEENST_IJLi5ELi6ELi7ELi8ELi9ELi10EEEElEEEEES36_NS_31BlockToCTileMap_M00_N00_M01_N01ILi128ELi128ES1Y_Lb0EEENS1_30ComputePtrOffsetOfStridedBatchILi1ELi1ELi1EvEELb0ELb0EEEvPKT0_S3E_T1_PT2_T3_T4_T5_iT6_T7_T8_T9_T10_T11_: ; @_ZN2ck16tensor_operation6device12_GLOBAL__N_137kernel_grouped_conv_fwd_dl_multiple_dINS_32GridwiseGemmDlMultipleD_km_kn_mnILi256EaiNS_5TupleIJaEEEaNS0_12element_wise11PassThroughES8_NS7_7AddReluELNS_25InMemoryDataOperationEnumE0ENS_16TensorDescriptorINS5_IJNS_5EmbedINS5_IJiiiiiEEESD_Lb0EEENS_11PassThroughIiEENS_3PadIiiiLb0EEESI_SI_SG_SG_NSC_INS5_IJiiEEESJ_Lb0EEESK_SK_SG_NS_23Merge_v2_magic_divisionINS5_IJiiiiEEEEESN_NS_8RightPadIiiLb0EEESP_NS_7UnMergeISJ_Lb0EEESG_EEENS5_IJNS_8SequenceIJLi0EEEENST_IJLi1EEEENST_IJLi2EEEENST_IJLi3EEEENST_IJLi4EEEENST_IJLi5EEEENST_IJLi6EEEENST_IJLi7EEEENST_IJLi8EEEENST_IJLi9EEEENST_IJLi10EEEENST_IJLi11ELi13ELi15ELi17EEEENST_IJLi12ELi14ELi16ELi18EEEENST_IJLi19EEEENST_IJLi20EEEENST_IJLi22EEEENST_IJLi21EEEEEEENS5_IJNST_IJLi1ELi2ELi3ELi4ELi5EEEES10_S11_S12_S13_S14_NST_IJLi11EEEENST_IJLi12ELi13EEEENST_IJLi14ELi15EEEENST_IJLi16ELi17EEEENST_IJLi18EEEES17_S18_S1A_S19_NST_IJLi23ELi24EEEENST_IJLi25EEEEEEENST_IJLi23ELi25ELi24EEEElEENSB_INS5_IJSR_SP_SP_SR_SG_EEENS5_IJSU_SV_SW_SY_SX_EEENS5_IJNST_IJLi1ELi2EEEESX_SY_NST_IJLi5ELi6EEEES11_EEENST_IJLi5ELi7ELi6EEEElEENSB_INS5_IJSK_SP_SP_EEENS5_IJSU_SV_SW_EEENS5_IJS1P_SX_SY_EEENST_IJLi3ELi4EEEElEELi128ELi128ELi16ELi4ELi4ELi4ELi1ENST_IJLi8ELi2EEEES1Z_NST_IJLi8ELi1ELi1ELi4EEEENST_IJLi2ELi1ELi128ELi1EEEENST_IJLi1ELi2ELi0ELi3EEEES22_NST_IJLi4ELi1ELi1ELi4EEEES22_NST_IJLi1ELi1ELi1ELi4EEEES20_S21_S22_S22_S23_S22_S24_NST_IJLi0ELi1ELi2ELi3ELi4ELi5EEEELi5ELi4EEEaNS5_IJPKaEEEaS8_S8_S9_NSB_INS5_IJSE_SG_SI_SI_SI_SG_SG_SK_SK_SK_SG_SN_SN_SP_SP_SR_SG_SG_NSQ_INS5_IJiNS_17integral_constantIiLi128EEEEEELb0EEENSF_INS2A_IiLi4EEEEEEEENS5_IJSU_SV_SW_SX_SY_SZ_S10_S11_S12_S13_S14_S15_S16_S17_S18_S19_S1A_NST_IJLi23EEEES1J_NST_IJLi24EEEEEEENS5_IJS1C_S10_S11_S12_S13_S14_S1D_S1E_S1F_S1G_S1H_S17_S18_S1A_S19_S1I_S1J_NST_IJLi26EEEENST_IJLi27ELi28EEEENST_IJLi29EEEEEEENST_IJLi26ELi27ELi28ELi29EEEElEENSB_INS5_IJSR_SP_SP_SR_SG_SG_S2D_S2F_EEENS5_IJSU_SV_SW_SY_SX_SZ_S11_S10_EEENS5_IJS1P_SX_SY_S1Q_S11_S12_NST_IJLi9ELi10EEEES1D_EEENST_IJLi8ELi9ELi10ELi11EEEElEENS5_IJNSB_INS5_IJSK_SP_SP_NSQ_INS5_IJiNS2A_IiLi2EEENS2A_IiLi64EEEEEELb0EEES2Z_EEENS5_IJSU_SV_SW_SX_SY_EEENS5_IJS1P_SX_SY_NST_IJLi5ELi6ELi7EEEENST_IJLi8ELi9ELi10EEEEEEENST_IJLi5ELi6ELi7ELi8ELi9ELi10EEEElEEEEES36_NS_31BlockToCTileMap_M00_N00_M01_N01ILi128ELi128ES1Y_Lb0EEENS1_30ComputePtrOffsetOfStridedBatchILi1ELi1ELi1EvEELb0ELb0EEEvPKT0_S3E_T1_PT2_T3_T4_T5_iT6_T7_T8_T9_T10_T11_
; %bb.0:
	s_add_u32 flat_scratch_lo, s6, s9
	s_addc_u32 flat_scratch_hi, s7, 0
	s_add_u32 s0, s0, s9
	s_load_dword s33, s[4:5], 0x24
	s_load_dwordx8 s[44:51], s[4:5], 0x0
	s_load_dwordx4 s[28:31], s[4:5], 0x3c
	s_load_dword s9, s[4:5], 0x4c
	s_load_dwordx8 s[12:19], s[4:5], 0x54
	s_addc_u32 s1, s1, 0
	s_waitcnt lgkmcnt(0)
	s_abs_i32 s34, s33
	v_cvt_f32_u32_e32 v1, s34
	s_load_dwordx2 s[6:7], s[4:5], 0x88
	s_load_dwordx2 s[10:11], s[4:5], 0x98
	;; [unrolled: 1-line block ×3, first 2 shown]
	s_load_dword s35, s[4:5], 0x300
	s_load_dwordx8 s[36:43], s[4:5], 0xb8
	s_load_dwordx4 s[72:75], s[4:5], 0xd8
	s_load_dwordx8 s[20:27], s[4:5], 0xec
	s_load_dwordx4 s[68:71], s[4:5], 0x10c
	v_rcp_iflag_f32_e32 v1, v1
	s_waitcnt lgkmcnt(0)
	s_xor_b32 s23, s35, s33
	s_abs_i32 s27, s35
	s_sub_i32 s33, 0, s34
	v_mul_f32_e32 v1, 0x4f7ffffe, v1
	v_cvt_u32_f32_e32 v1, v1
	s_ashr_i32 s23, s23, 31
	s_load_dword s71, s[4:5], 0x120
	s_load_dword s43, s[4:5], 0x12c
	;; [unrolled: 1-line block ×3, first 2 shown]
	v_lshrrev_b32_e32 v24, 1, v0
	v_readfirstlane_b32 s35, v1
	s_mul_i32 s33, s33, s35
	s_mul_hi_u32 s33, s35, s33
	s_add_i32 s35, s35, s33
	s_mul_hi_u32 s33, s27, s35
	s_mul_i32 s35, s33, s34
	s_sub_i32 s27, s27, s35
	s_add_i32 s35, s33, 1
	s_sub_i32 s39, s27, s34
	s_cmp_ge_u32 s27, s34
	s_cselect_b32 s33, s35, s33
	s_cselect_b32 s27, s39, s27
	s_add_i32 s35, s33, 1
	s_cmp_ge_u32 s27, s34
	s_cselect_b32 s27, s35, s33
	s_xor_b32 s27, s27, s23
	s_sub_i32 s27, s27, s23
	s_abs_i32 s60, s27
	v_cvt_f32_u32_e32 v1, s60
	s_sub_i32 s63, 0, s60
	s_abs_i32 s61, s8
	s_xor_b32 s27, s8, s27
	v_rcp_iflag_f32_e32 v1, v1
	s_ashr_i32 s27, s27, 31
	s_load_dword s62, s[4:5], 0x160
	s_load_dword s67, s[4:5], 0x170
	;; [unrolled: 1-line block ×6, first 2 shown]
	s_load_dwordx2 s[34:35], s[4:5], 0x1d0
	s_load_dword s23, s[4:5], 0x1dc
	s_load_dwordx8 s[52:59], s[4:5], 0x2d8
	v_mov_b32_e32 v34, 0
	v_mul_f32_e32 v1, 0x4f7ffffe, v1
	v_cvt_u32_f32_e32 v1, v1
	s_movk_i32 s32, 0x7000
	v_readfirstlane_b32 s64, v1
	s_mul_i32 s63, s63, s64
	s_mul_hi_u32 s63, s64, s63
	s_add_i32 s64, s64, s63
	s_mul_hi_u32 s63, s61, s64
	s_mul_i32 s64, s63, s60
	s_sub_i32 s61, s61, s64
	s_add_i32 s64, s63, 1
	s_sub_i32 s65, s61, s60
	s_cmp_ge_u32 s61, s60
	s_cselect_b32 s63, s64, s63
	s_cselect_b32 s61, s65, s61
	s_add_i32 s64, s63, 1
	s_cmp_ge_u32 s61, s60
	s_cselect_b32 s60, s64, s63
	s_xor_b32 s60, s60, s27
	s_sub_i32 s27, s60, s27
	s_ashr_i32 s60, s27, 31
	s_waitcnt lgkmcnt(0)
	s_mul_i32 s61, s52, s60
	s_mul_hi_u32 s63, s52, s27
	s_add_i32 s61, s63, s61
	s_mul_i32 s53, s53, s27
	s_add_i32 s61, s61, s53
	s_mul_i32 s63, s52, s27
	s_mul_i32 s52, s54, s60
	s_mul_hi_u32 s53, s54, s27
	s_add_i32 s52, s53, s52
	s_mul_i32 s53, s55, s27
	s_add_i32 s65, s52, s53
	s_mul_i32 s52, s58, s60
	s_mul_hi_u32 s53, s58, s27
	s_mul_i32 s60, s56, s60
	s_mul_hi_u32 s82, s56, s27
	s_add_i32 s79, s53, s52
	s_mul_i32 s80, s59, s27
	s_mul_i32 s83, s57, s27
	s_add_i32 s60, s82, s60
	s_mul_i32 s64, s54, s27
	s_mul_i32 s81, s58, s27
	;; [unrolled: 1-line block ×3, first 2 shown]
	s_add_i32 s79, s79, s80
	s_add_i32 s60, s60, s83
	s_add_u32 s48, s48, s27
	s_addc_u32 s49, s49, s60
	s_load_dwordx4 s[52:55], s[4:5], 0x298
	s_load_dwordx4 s[56:59], s[4:5], 0x2ac
	s_add_u32 s60, s44, s63
	s_addc_u32 s61, s45, s61
	s_add_u32 s64, s46, s64
	s_addc_u32 s65, s47, s65
	s_add_u32 s44, s50, s81
	s_load_dwordx4 s[80:83], s[4:5], 0x2c0
	s_load_dword s27, s[4:5], 0x27c
	s_load_dword s46, s[4:5], 0x28c
	s_waitcnt lgkmcnt(0)
	s_mul_hi_u32 s47, s59, s8
	s_addc_u32 s45, s51, s79
	s_add_i32 s47, s8, s47
	s_lshr_b32 s47, s47, s83
	s_mul_i32 s50, s47, s55
	s_sub_i32 s8, s8, s50
	s_mul_hi_u32 s50, s47, s58
	s_add_i32 s50, s47, s50
	s_lshr_b32 s50, s50, s82
	v_lshlrev_b32_e32 v1, 3, v0
	s_mul_i32 s51, s50, s54
	v_and_b32_e32 v25, 8, v1
	s_sub_i32 s47, s47, s51
	s_mul_hi_u32 s51, s50, s57
	v_mul_lo_u32 v27, s78, v25
	s_add_i32 s51, s50, s51
	v_mul_hi_u32 v1, v27, s26
	s_lshr_b32 s51, s51, s81
	v_add_u32_e32 v1, v27, v1
	s_mul_i32 s53, s51, s53
	v_lshrrev_b32_e32 v1, s70, v1
	s_sub_i32 s50, s50, s53
	s_mul_hi_u32 s53, s51, s56
	v_mul_lo_u32 v2, v1, s22
	s_add_i32 s53, s51, s53
	v_sub_u32_e32 v4, v27, v2
	v_mul_hi_u32 v2, v1, s25
	s_lshr_b32 s53, s53, s80
	v_add_u32_e32 v2, v1, v2
	s_mul_i32 s53, s53, s52
	v_lshrrev_b32_e32 v2, s69, v2
	s_sub_i32 s51, s51, s53
	v_mul_lo_u32 v3, v2, s21
	s_mul_i32 s51, s51, s27
	v_sub_u32_e32 v8, v1, v3
	v_mul_hi_u32 v1, v2, s24
	s_add_i32 s47, s47, s51
	v_add_u32_e32 v1, v2, v1
	s_lshl_b32 s27, s47, 7
	v_lshrrev_b32_e32 v9, s68, v1
	v_or_b32_e32 v26, s27, v24
	v_mul_lo_u32 v1, v9, s20
	v_sub_u32_e32 v10, v2, v1
	v_mul_hi_u32 v1, v26, s42
	v_add_u32_e32 v1, v26, v1
	v_lshrrev_b32_e32 v1, s74, v1
	v_mul_lo_u32 v2, v1, s38
	v_sub_u32_e32 v3, v26, v2
	v_mul_hi_u32 v2, v1, s41
	v_add_u32_e32 v2, v1, v2
	v_lshrrev_b32_e32 v2, s73, v2
	;; [unrolled: 5-line block ×3, first 2 shown]
	v_mul_lo_u32 v6, v5, s36
	v_sub_u32_e32 v7, v2, v6
	v_mul_lo_u32 v2, v8, s76
	v_mul_lo_u32 v6, v10, s10
	v_mad_u64_u32 v[2:3], s[36:37], v3, s77, v[2:3]
	v_mad_u64_u32 v[20:21], s[36:37], v1, s11, v[6:7]
	v_mul_lo_u32 v6, v9, s6
	v_mad_u64_u32 v[22:23], s[36:37], v7, s7, v[6:7]
	v_subrev_u32_e32 v1, s19, v2
	v_subrev_u32_e32 v3, s16, v20
	;; [unrolled: 1-line block ×3, first 2 shown]
	v_mul_lo_u32 v3, v3, s30
	v_mul_lo_u32 v1, v1, s31
	;; [unrolled: 1-line block ×5, first 2 shown]
	v_add3_u32 v1, v1, v7, v3
	v_add3_u32 v3, v1, v5, v6
	v_lshrrev_b32_e32 v1, 5, v0
	v_lshlrev_b32_e32 v6, 1, v0
	v_lshlrev_b32_e32 v5, 6, v1
	v_and_b32_e32 v7, 0x1f8, v6
	v_sub_u32_e32 v5, v7, v5
	v_lshlrev_b32_e32 v0, 2, v0
	v_and_or_b32 v35, v0, 4, v5
	v_and_b32_e32 v0, 0x1fc, v6
	v_sub_u32_e32 v0, v0, v7
	v_lshl_add_u32 v36, v1, 3, v0
	v_lshlrev_b32_e32 v0, 2, v36
	buffer_store_dword v34, off, s[0:3], 0 offset:64
	buffer_store_dword v36, off, s[0:3], 0 offset:68
	;; [unrolled: 1-line block ×12, first 2 shown]
	v_lshlrev_b32_e32 v0, 2, v35
	s_mov_b64 s[36:37], src_shared_base
	buffer_store_dword v0, off, s[0:3], 0 offset:112
	buffer_store_dword v34, off, s[0:3], 0 offset:116
	;; [unrolled: 1-line block ×72, first 2 shown]
	v_mov_b32_e32 v0, s37
	buffer_store_dword v0, off, s[0:3], 0 offset:404
	buffer_store_dword v34, off, s[0:3], 0 offset:400
	buffer_store_byte v34, off, s[0:3], 0 offset:409
	buffer_store_dword v0, off, s[0:3], 0 offset:420
	v_mov_b32_e32 v0, 0x4000
	buffer_store_dword v0, off, s[0:3], 0 offset:416
	buffer_store_byte v34, off, s[0:3], 0 offset:425
	v_or_b32_e32 v0, 4, v25
	v_mul_lo_u32 v21, s78, v0
	v_mul_hi_u32 v0, v21, s26
	v_add_u32_e32 v0, v21, v0
	v_lshrrev_b32_e32 v11, s70, v0
	v_mad_u64_u32 v[0:1], s[36:37], v11, s22, v[4:5]
	v_sub_u32_e32 v12, v21, v0
	v_mul_hi_u32 v0, v11, s25
	v_add_u32_e32 v0, v11, v0
	v_lshrrev_b32_e32 v13, s69, v0
	v_mad_u64_u32 v[0:1], s[36:37], v13, s21, v[8:9]
	v_sub_u32_e32 v8, v11, v0
	v_mul_hi_u32 v0, v13, s24
	s_mov_b32 s63, 0x20000
	v_add_u32_e32 v0, v13, v0
	buffer_load_dwordx4 v[4:7], v3, s[60:63], 0 offen
	v_lshrrev_b32_e32 v11, s68, v0
	v_mad_u64_u32 v[0:1], s[20:21], v11, s20, v[10:11]
	v_sub_u32_e32 v1, v11, v9
	v_sub_u32_e32 v0, v13, v0
	v_mul_lo_u32 v23, v8, s76
	v_mul_lo_u32 v1, v1, s6
	s_mul_i32 s50, s50, s46
	v_mul_lo_u32 v28, v0, s10
	v_mul_lo_u32 v0, v1, s29
	;; [unrolled: 1-line block ×4, first 2 shown]
	s_add_i32 s8, s8, s50
	v_mul_lo_u32 v8, v28, s30
	v_add3_u32 v0, v9, v10, v0
	v_add3_u32 v0, v0, v8, v3
	buffer_load_dwordx4 v[8:11], v0, s[60:63], 0 offen
	s_lshl_b32 s20, s8, 7
	v_or_b32_e32 v3, s20, v24
	v_mul_lo_u32 v0, s75, v25
	v_mad_u64_u32 v[16:17], s[6:7], v3, s67, v[0:1]
	s_mov_b32 s67, s63
	buffer_load_dwordx4 v[12:15], v16, s[64:67], 0 offen
	s_lshl_b32 s21, s75, 2
	v_add_u32_e32 v16, s21, v16
	buffer_load_dwordx4 v[16:19], v16, s[64:67], 0 offen
	s_load_dword s10, s[4:5], 0x74
	v_cmp_le_i32_e64 s[8:9], s19, v2
	v_cmp_gt_i32_e32 vcc, s43, v27
	s_sub_i32 s15, s15, s17
	s_sub_i32 s12, s12, s14
	s_waitcnt lgkmcnt(0)
	s_sub_i32 s18, s18, s10
	v_cmp_gt_i32_e64 s[10:11], s18, v2
	s_and_b64 s[8:9], s[8:9], s[10:11]
	s_and_b64 s[10:11], vcc, s[8:9]
	v_cmp_le_i32_e32 vcc, s16, v20
	v_cmp_gt_i32_e64 s[8:9], s15, v20
	s_and_b64 s[8:9], vcc, s[8:9]
	s_and_b64 s[10:11], s[10:11], s[8:9]
	v_cmp_le_i32_e32 vcc, s13, v22
	v_cmp_gt_i32_e64 s[8:9], s12, v22
	s_and_b64 s[8:9], vcc, s[8:9]
	v_cmp_gt_i32_e64 s[6:7], s71, v26
	s_and_b64 s[8:9], s[10:11], s[8:9]
	v_add_u32_e32 v2, v2, v23
	s_and_b64 vcc, s[6:7], s[8:9]
	v_cmp_le_i32_e64 s[8:9], s19, v2
	v_cmp_gt_i32_e64 s[10:11], s18, v2
	v_add_u32_e32 v20, v20, v28
	s_and_b64 s[8:9], s[8:9], s[10:11]
	v_add_u32_e32 v1, v22, v1
	v_lshlrev_b32_e32 v24, 2, v24
	v_lshl_or_b32 v24, v25, 9, v24
	s_waitcnt vmcnt(3)
	v_cndmask_b32_e32 v7, 0, v7, vcc
	v_cndmask_b32_e32 v6, 0, v6, vcc
	;; [unrolled: 1-line block ×4, first 2 shown]
	v_cmp_gt_i32_e32 vcc, s43, v21
	s_and_b64 s[10:11], vcc, s[8:9]
	v_cmp_le_i32_e32 vcc, s16, v20
	v_cmp_gt_i32_e64 s[8:9], s15, v20
	s_and_b64 s[8:9], vcc, s[8:9]
	s_and_b64 s[10:11], s[10:11], s[8:9]
	v_cmp_le_i32_e32 vcc, s13, v1
	v_cmp_gt_i32_e64 s[8:9], s12, v1
	s_and_b64 s[8:9], vcc, s[8:9]
	s_and_b64 s[8:9], s[10:11], s[8:9]
	s_and_b64 vcc, s[6:7], s[8:9]
	v_cmp_gt_i32_e64 s[6:7], s39, v3
	s_waitcnt vmcnt(2)
	v_cndmask_b32_e32 v1, 0, v11, vcc
	v_cndmask_b32_e32 v2, 0, v10, vcc
	;; [unrolled: 1-line block ×4, first 2 shown]
	v_cmp_gt_i32_e32 vcc, s33, v0
	s_and_b64 vcc, vcc, s[6:7]
	v_add_u32_e32 v0, s21, v0
	s_waitcnt vmcnt(1)
	v_cndmask_b32_e32 v3, 0, v15, vcc
	v_cndmask_b32_e32 v10, 0, v14, vcc
	;; [unrolled: 1-line block ×4, first 2 shown]
	v_cmp_gt_i32_e32 vcc, s33, v0
	s_and_b64 vcc, vcc, s[6:7]
	s_mov_b32 s6, 0x3020104
	v_perm_b32 v2, v2, v2, s6
	ds_write2st64_b32 v24, v2, v1 offset0:12 offset1:14
	v_perm_b32 v1, v12, v12, s6
	s_waitcnt vmcnt(0)
	v_cndmask_b32_e32 v15, 0, v16, vcc
	v_perm_b32 v4, v4, v4, s6
	ds_write2st64_b32 v24, v1, v11 offset0:64 offset1:66
	v_perm_b32 v1, v10, v10, s6
	v_cndmask_b32_e32 v13, 0, v18, vcc
	v_cndmask_b32_e32 v14, 0, v17, vcc
	ds_write2st64_b32 v24, v4, v5 offset1:2
	v_perm_b32 v4, v6, v6, s6
	ds_write2st64_b32 v24, v1, v3 offset0:68 offset1:70
	v_perm_b32 v1, v15, v15, s6
	v_cndmask_b32_e32 v0, 0, v19, vcc
	ds_write2st64_b32 v24, v4, v7 offset0:4 offset1:6
	v_perm_b32 v4, v8, v8, s6
	ds_write2st64_b32 v24, v1, v14 offset0:72 offset1:74
	v_perm_b32 v1, v13, v13, s6
	ds_write2st64_b32 v24, v4, v9 offset0:8 offset1:10
	ds_write2st64_b32 v24, v1, v0 offset0:76 offset1:78
	s_waitcnt lgkmcnt(0)
	s_barrier
	buffer_load_dword v0, off, s[0:3], 0 offset:80
	buffer_load_dword v1, off, s[0:3], 0 offset:400
	;; [unrolled: 1-line block ×3, first 2 shown]
	s_nop 0
	buffer_store_dword v34, off, s[0:3], 0
	buffer_store_dword v34, off, s[0:3], 0 offset:4
	buffer_store_dword v34, off, s[0:3], 0 offset:8
	;; [unrolled: 1-line block ×15, first 2 shown]
	buffer_load_dword v16, off, s[0:3], 0 offset:180
	buffer_load_dword v17, off, s[0:3], 0 offset:184
	;; [unrolled: 1-line block ×13, first 2 shown]
	s_getpc_b64 s[6:7]
	s_add_u32 s6, s6, _ZNK2ck6detail15static_for_implINS_8SequenceIJLi1ELi2ELi3ELi4ELi5ELi6ELi7ELi8ELi9ELi10ELi11ELi12ELi13ELi14ELi15EEEEEclIZNKS_80BlockwiseGemmDl_A_BK0_BM_BK1_B_BK0_BN_BK1_C_BM0_BM1_BN0_BN1_pipeline_BM0_2_BN0_2ILi256EaaiKNS_16TensorDescriptorINS_5TupleIJNS_5EmbedINS8_IJNS_17integral_constantIiLi16EEENSA_IiLi128EEENSA_IiLi4EEEEEENS8_IJNSA_IiLi512EEESD_NSA_IiLi1EEEEEELb0EEEEEENS8_IJNS2_IJLi0EEEEEEENS8_IJNS2_IJLi1ELi2ELi3EEEEEEESM_NSA_IlLl8192EEEEESQ_Li4ELi4ELi1ENS2_IJLi8ELi2EEEESR_Li4ELi4ELb0EE3RunINS7_INS8_IJNS_7UnMergeINS8_IJNSA_IiLi2EEESD_SV_SD_EEELb0EEEEEESL_NS8_IJNS2_IJLi1ELi2ELi3ELi4EEEEEEESZ_NSA_IlLl64EEEEENS_13DynamicBufferILNS_16AddressSpaceEnumE2EaSO_Lb1ELNS_22AmdBufferCoherenceEnumE0EiEES16_NS_12StaticBufferILS14_4EiLi64ELb1EEEEEvRKT_RKT0_RKT1_RT2_EUlS19_E_EEvS19_@rel32@lo+4
	s_addc_u32 s7, s7, _ZNK2ck6detail15static_for_implINS_8SequenceIJLi1ELi2ELi3ELi4ELi5ELi6ELi7ELi8ELi9ELi10ELi11ELi12ELi13ELi14ELi15EEEEEclIZNKS_80BlockwiseGemmDl_A_BK0_BM_BK1_B_BK0_BN_BK1_C_BM0_BM1_BN0_BN1_pipeline_BM0_2_BN0_2ILi256EaaiKNS_16TensorDescriptorINS_5TupleIJNS_5EmbedINS8_IJNS_17integral_constantIiLi16EEENSA_IiLi128EEENSA_IiLi4EEEEEENS8_IJNSA_IiLi512EEESD_NSA_IiLi1EEEEEELb0EEEEEENS8_IJNS2_IJLi0EEEEEEENS8_IJNS2_IJLi1ELi2ELi3EEEEEEESM_NSA_IlLl8192EEEEESQ_Li4ELi4ELi1ENS2_IJLi8ELi2EEEESR_Li4ELi4ELb0EE3RunINS7_INS8_IJNS_7UnMergeINS8_IJNSA_IiLi2EEESD_SV_SD_EEELb0EEEEEESL_NS8_IJNS2_IJLi1ELi2ELi3ELi4EEEEEEESZ_NSA_IlLl64EEEEENS_13DynamicBufferILNS_16AddressSpaceEnumE2EaSO_Lb1ELNS_22AmdBufferCoherenceEnumE0EiEES16_NS_12StaticBufferILS14_4EiLi64ELb1EEEEEvRKT_RKT0_RKT1_RT2_EUlS19_E_EEvS19_@rel32@hi+12
	s_waitcnt vmcnt(31)
	v_ashrrev_i32_e32 v3, 31, v0
	s_waitcnt vmcnt(30)
	v_add_co_u32_e32 v12, vcc, v1, v0
	s_waitcnt vmcnt(29)
	v_addc_co_u32_e32 v13, vcc, v2, v3, vcc
	flat_load_dwordx4 v[0:3], v[12:13]
	s_waitcnt vmcnt(0)
	v_ashrrev_i32_e32 v7, 31, v6
	v_add_co_u32_e32 v8, vcc, v4, v6
	s_waitcnt lgkmcnt(0)
	buffer_store_dword v0, off, s[0:3], 0
	buffer_store_dword v1, off, s[0:3], 0 offset:4
	buffer_store_dword v2, off, s[0:3], 0 offset:8
	;; [unrolled: 1-line block ×3, first 2 shown]
	v_addc_co_u32_e32 v9, vcc, v5, v7, vcc
	buffer_load_dword v26, off, s[0:3], 0 offset:212
	buffer_load_dword v27, off, s[0:3], 0 offset:192
	;; [unrolled: 1-line block ×6, first 2 shown]
	flat_load_dwordx4 v[4:7], v[8:9]
	s_waitcnt vmcnt(0) lgkmcnt(0)
	buffer_store_dword v4, off, s[0:3], 0 offset:32
	buffer_store_dword v5, off, s[0:3], 0 offset:36
	;; [unrolled: 1-line block ×4, first 2 shown]
	flat_load_dwordx4 v[8:11], v[8:9] offset:256
	s_nop 0
	buffer_load_dword v32, off, s[0:3], 0 offset:176
	buffer_load_dword v33, off, s[0:3], 0 offset:208
	;; [unrolled: 1-line block ×16, first 2 shown]
	s_waitcnt vmcnt(0) lgkmcnt(0)
	buffer_store_dword v8, off, s[0:3], 0 offset:48
	buffer_store_dword v9, off, s[0:3], 0 offset:52
	;; [unrolled: 1-line block ×4, first 2 shown]
	flat_load_dwordx4 v[12:15], v[12:13] offset:256
	s_load_dword s8, s[4:5], 0x1e8
	s_load_dword s50, s[4:5], 0x210
	s_load_dwordx2 s[10:11], s[4:5], 0x220
	s_load_dword s12, s[4:5], 0x22c
	s_load_dword s13, s[4:5], 0x238
	s_load_dword s46, s[4:5], 0x260
	s_mov_b64 s[4:5], src_private_base
	v_dot4c_i32_i8_e32 v25, v0, v4
	v_dot4c_i32_i8_e32 v22, v0, v5
	;; [unrolled: 1-line block ×32, first 2 shown]
	v_mov_b32_e32 v0, 64
	v_mov_b32_e32 v2, 0x190
	;; [unrolled: 1-line block ×12, first 2 shown]
	buffer_store_dword v25, off, s[0:3], 0 offset:144
	buffer_store_dword v22, off, s[0:3], 0 offset:148
	;; [unrolled: 1-line block ×32, first 2 shown]
	s_waitcnt vmcnt(0) lgkmcnt(0)
	buffer_store_dword v12, off, s[0:3], 0 offset:16
	buffer_store_dword v13, off, s[0:3], 0 offset:20
	;; [unrolled: 1-line block ×4, first 2 shown]
	s_swappc_b64 s[30:31], s[6:7]
	buffer_load_dword v19, off, s[0:3], 0 offset:32
	buffer_load_dword v33, off, s[0:3], 0 offset:36
	;; [unrolled: 1-line block ×57, first 2 shown]
	s_mov_b32 s51, s63
	s_lshl_b32 s14, s35, 6
	s_lshl_b32 s9, s35, 7
	s_add_i32 s15, s14, s34
	s_sub_i32 s15, s15, s9
	s_mov_b32 s47, s63
	s_waitcnt vmcnt(50)
	v_dot4c_i32_i8_e32 v25, v39, v19
	s_waitcnt vmcnt(49)
	v_dot4c_i32_i8_e32 v24, v39, v33
	;; [unrolled: 2-line block ×12, first 2 shown]
	buffer_store_dword v25, off, s[0:3], 0 offset:272
	buffer_store_dword v24, off, s[0:3], 0 offset:276
	;; [unrolled: 1-line block ×12, first 2 shown]
	s_waitcnt vmcnt(48)
	v_dot4c_i32_i8_e32 v0, v42, v19
	s_waitcnt vmcnt(47)
	v_dot4c_i32_i8_e32 v1, v42, v33
	v_add_u32_e32 v33, s20, v35
	v_add_u32_e32 v35, s27, v36
	s_waitcnt vmcnt(46)
	v_dot4c_i32_i8_e32 v2, v42, v37
	s_waitcnt vmcnt(45)
	v_dot4c_i32_i8_e32 v3, v42, v38
	;; [unrolled: 2-line block ×4, first 2 shown]
	v_mul_lo_u32 v36, v35, s34
	s_waitcnt vmcnt(39)
	v_dot4c_i32_i8_e32 v31, v39, v45
	buffer_store_dword v0, off, s[0:3], 0 offset:368
	s_waitcnt vmcnt(38)
	v_dot4c_i32_i8_e32 v32, v39, v46
	s_waitcnt vmcnt(37)
	v_dot4c_i32_i8_e32 v21, v40, v43
	;; [unrolled: 2-line block ×13, first 2 shown]
	buffer_store_dword v1, off, s[0:3], 0 offset:372
	buffer_store_dword v2, off, s[0:3], 0 offset:376
	;; [unrolled: 1-line block ×19, first 2 shown]
	v_mad_u64_u32 v[36:37], s[4:5], v33, s35, v[36:37]
	buffer_load_dword v19, v36, s[48:51], 0 offen
	v_cmp_gt_i32_e64 s[4:5], s8, v33
	v_cmp_gt_i32_e64 s[6:7], s23, v35
	s_and_b64 vcc, s[6:7], s[4:5]
	v_add_u32_e32 v36, s14, v36
	v_add_u32_e32 v41, 64, v33
	s_waitcnt vmcnt(0)
	v_cndmask_b32_e32 v19, 0, v19, vcc
	v_add_u16_sdwa v37, v19, v47 dst_sel:DWORD dst_unused:UNUSED_PAD src0_sel:BYTE_3 src1_sel:DWORD
	v_add_u16_sdwa v38, v19, v48 dst_sel:DWORD dst_unused:UNUSED_PAD src0_sel:WORD_1 src1_sel:DWORD
	v_add_u16_sdwa v39, v19, v49 dst_sel:DWORD dst_unused:UNUSED_PAD src0_sel:BYTE_1 src1_sel:DWORD
	v_add_u16_e32 v19, v19, v50
	v_max_i16_sdwa v40, sext(v19), v34 dst_sel:DWORD dst_unused:UNUSED_PAD src0_sel:BYTE_0 src1_sel:DWORD
	v_max_i16_sdwa v39, sext(v39), v34 dst_sel:DWORD dst_unused:UNUSED_PAD src0_sel:BYTE_0 src1_sel:DWORD
	;; [unrolled: 1-line block ×4, first 2 shown]
	buffer_store_dword v40, off, s[0:3], 0 offset:144
	buffer_store_dword v37, off, s[0:3], 0 offset:156
	;; [unrolled: 1-line block ×4, first 2 shown]
	buffer_load_dword v19, v36, s[48:51], 0 offen
	v_cmp_gt_i32_e32 vcc, s8, v41
	s_and_b64 s[6:7], s[6:7], vcc
	v_add_u32_e32 v36, s15, v36
	s_waitcnt vmcnt(0)
	v_cndmask_b32_e64 v19, 0, v19, s[6:7]
	v_add_u16_e32 v42, v19, v52
	v_add_u16_sdwa v43, v19, v53 dst_sel:DWORD dst_unused:UNUSED_PAD src0_sel:BYTE_3 src1_sel:DWORD
	v_add_u16_sdwa v44, v19, v58 dst_sel:DWORD dst_unused:UNUSED_PAD src0_sel:WORD_1 src1_sel:DWORD
	v_add_u16_sdwa v19, v19, v51 dst_sel:DWORD dst_unused:UNUSED_PAD src0_sel:BYTE_1 src1_sel:DWORD
	v_max_i16_sdwa v42, sext(v42), v34 dst_sel:DWORD dst_unused:UNUSED_PAD src0_sel:BYTE_0 src1_sel:DWORD
	v_max_i16_sdwa v19, sext(v19), v34 dst_sel:DWORD dst_unused:UNUSED_PAD src0_sel:BYTE_0 src1_sel:DWORD
	v_max_i16_sdwa v44, sext(v44), v34 dst_sel:DWORD dst_unused:UNUSED_PAD src0_sel:BYTE_0 src1_sel:DWORD
	v_max_i16_sdwa v43, sext(v43), v34 dst_sel:DWORD dst_unused:UNUSED_PAD src0_sel:BYTE_0 src1_sel:DWORD
	buffer_store_dword v42, off, s[0:3], 0 offset:160
	buffer_store_dword v43, off, s[0:3], 0 offset:172
	;; [unrolled: 1-line block ×4, first 2 shown]
	buffer_load_dword v19, v36, s[48:51], 0 offen
	v_or_b32_e32 v42, 1, v35
	v_cmp_gt_i32_e64 s[6:7], s23, v42
	s_and_b64 s[8:9], s[6:7], s[4:5]
	v_add_u32_e32 v36, s14, v36
	s_and_b64 s[6:7], s[6:7], vcc
	s_waitcnt vmcnt(0)
	v_cndmask_b32_e64 v19, 0, v19, s[8:9]
	v_add_u16_e32 v43, v19, v54
	v_add_u16_sdwa v44, v19, v57 dst_sel:DWORD dst_unused:UNUSED_PAD src0_sel:BYTE_3 src1_sel:DWORD
	v_add_u16_sdwa v45, v19, v56 dst_sel:DWORD dst_unused:UNUSED_PAD src0_sel:WORD_1 src1_sel:DWORD
	v_add_u16_sdwa v19, v19, v55 dst_sel:DWORD dst_unused:UNUSED_PAD src0_sel:BYTE_1 src1_sel:DWORD
	v_max_i16_sdwa v43, sext(v43), v34 dst_sel:DWORD dst_unused:UNUSED_PAD src0_sel:BYTE_0 src1_sel:DWORD
	v_max_i16_sdwa v19, sext(v19), v34 dst_sel:DWORD dst_unused:UNUSED_PAD src0_sel:BYTE_0 src1_sel:DWORD
	;; [unrolled: 1-line block ×4, first 2 shown]
	buffer_store_dword v43, off, s[0:3], 0 offset:176
	buffer_store_dword v44, off, s[0:3], 0 offset:188
	buffer_store_dword v45, off, s[0:3], 0 offset:184
	buffer_store_dword v19, off, s[0:3], 0 offset:180
	buffer_load_dword v19, v36, s[48:51], 0 offen
	s_nop 0
	buffer_load_dword v43, off, s[0:3], 0 offset:192
	buffer_load_dword v44, off, s[0:3], 0 offset:204
	;; [unrolled: 1-line block ×8, first 2 shown]
	v_add_u32_e32 v36, s15, v36
	s_waitcnt vmcnt(8)
	v_cndmask_b32_e64 v19, 0, v19, s[6:7]
	s_waitcnt vmcnt(7)
	v_add_u16_e32 v43, v19, v43
	s_waitcnt vmcnt(6)
	v_add_u16_sdwa v44, v19, v44 dst_sel:DWORD dst_unused:UNUSED_PAD src0_sel:BYTE_3 src1_sel:DWORD
	s_waitcnt vmcnt(5)
	v_add_u16_sdwa v45, v19, v45 dst_sel:DWORD dst_unused:UNUSED_PAD src0_sel:WORD_1 src1_sel:DWORD
	s_waitcnt vmcnt(4)
	v_add_u16_sdwa v19, v19, v46 dst_sel:DWORD dst_unused:UNUSED_PAD src0_sel:BYTE_1 src1_sel:DWORD
	v_max_i16_sdwa v43, sext(v43), v34 dst_sel:DWORD dst_unused:UNUSED_PAD src0_sel:BYTE_0 src1_sel:DWORD
	v_max_i16_sdwa v19, sext(v19), v34 dst_sel:DWORD dst_unused:UNUSED_PAD src0_sel:BYTE_0 src1_sel:DWORD
	;; [unrolled: 1-line block ×4, first 2 shown]
	buffer_store_dword v43, off, s[0:3], 0 offset:192
	buffer_store_dword v44, off, s[0:3], 0 offset:204
	;; [unrolled: 1-line block ×4, first 2 shown]
	buffer_load_dword v19, v36, s[48:51], 0 offen
	v_or_b32_e32 v43, 2, v35
	v_cmp_gt_i32_e64 s[6:7], s23, v43
	s_and_b64 s[8:9], s[6:7], s[4:5]
	v_add_u32_e32 v36, s14, v36
	s_and_b64 s[6:7], s[6:7], vcc
	s_waitcnt vmcnt(0)
	v_cndmask_b32_e64 v19, 0, v19, s[8:9]
	v_add_u16_e32 v44, v19, v47
	v_add_u16_sdwa v45, v19, v50 dst_sel:DWORD dst_unused:UNUSED_PAD src0_sel:BYTE_3 src1_sel:DWORD
	v_add_u16_sdwa v46, v19, v49 dst_sel:DWORD dst_unused:UNUSED_PAD src0_sel:WORD_1 src1_sel:DWORD
	v_add_u16_sdwa v19, v19, v48 dst_sel:DWORD dst_unused:UNUSED_PAD src0_sel:BYTE_1 src1_sel:DWORD
	v_max_i16_sdwa v44, sext(v44), v34 dst_sel:DWORD dst_unused:UNUSED_PAD src0_sel:BYTE_0 src1_sel:DWORD
	v_max_i16_sdwa v19, sext(v19), v34 dst_sel:DWORD dst_unused:UNUSED_PAD src0_sel:BYTE_0 src1_sel:DWORD
	;; [unrolled: 1-line block ×4, first 2 shown]
	buffer_store_dword v44, off, s[0:3], 0 offset:208
	buffer_store_dword v45, off, s[0:3], 0 offset:220
	;; [unrolled: 1-line block ×4, first 2 shown]
	buffer_load_dword v19, v36, s[48:51], 0 offen
	s_nop 0
	buffer_load_dword v44, off, s[0:3], 0 offset:224
	buffer_load_dword v45, off, s[0:3], 0 offset:236
	;; [unrolled: 1-line block ×8, first 2 shown]
	v_add_u32_e32 v36, s15, v36
	s_waitcnt vmcnt(8)
	v_cndmask_b32_e64 v19, 0, v19, s[6:7]
	s_waitcnt vmcnt(7)
	v_add_u16_e32 v44, v19, v44
	s_waitcnt vmcnt(6)
	v_add_u16_sdwa v45, v19, v45 dst_sel:DWORD dst_unused:UNUSED_PAD src0_sel:BYTE_3 src1_sel:DWORD
	s_waitcnt vmcnt(5)
	v_add_u16_sdwa v46, v19, v46 dst_sel:DWORD dst_unused:UNUSED_PAD src0_sel:WORD_1 src1_sel:DWORD
	s_waitcnt vmcnt(4)
	v_add_u16_sdwa v19, v19, v47 dst_sel:DWORD dst_unused:UNUSED_PAD src0_sel:BYTE_1 src1_sel:DWORD
	v_max_i16_sdwa v44, sext(v44), v34 dst_sel:DWORD dst_unused:UNUSED_PAD src0_sel:BYTE_0 src1_sel:DWORD
	v_max_i16_sdwa v19, sext(v19), v34 dst_sel:DWORD dst_unused:UNUSED_PAD src0_sel:BYTE_0 src1_sel:DWORD
	;; [unrolled: 1-line block ×4, first 2 shown]
	buffer_store_dword v44, off, s[0:3], 0 offset:224
	buffer_store_dword v45, off, s[0:3], 0 offset:236
	;; [unrolled: 1-line block ×4, first 2 shown]
	buffer_load_dword v19, v36, s[48:51], 0 offen
	v_or_b32_e32 v44, 3, v35
	v_cmp_gt_i32_e64 s[6:7], s23, v44
	s_and_b64 s[8:9], s[6:7], s[4:5]
	v_add_u32_e32 v36, s14, v36
	s_and_b64 s[6:7], s[6:7], vcc
	s_waitcnt vmcnt(0)
	v_cndmask_b32_e64 v19, 0, v19, s[8:9]
	v_add_u16_e32 v45, v19, v48
	v_add_u16_sdwa v46, v19, v51 dst_sel:DWORD dst_unused:UNUSED_PAD src0_sel:BYTE_3 src1_sel:DWORD
	v_add_u16_sdwa v47, v19, v50 dst_sel:DWORD dst_unused:UNUSED_PAD src0_sel:WORD_1 src1_sel:DWORD
	v_add_u16_sdwa v19, v19, v49 dst_sel:DWORD dst_unused:UNUSED_PAD src0_sel:BYTE_1 src1_sel:DWORD
	v_max_i16_sdwa v45, sext(v45), v34 dst_sel:DWORD dst_unused:UNUSED_PAD src0_sel:BYTE_0 src1_sel:DWORD
	v_max_i16_sdwa v19, sext(v19), v34 dst_sel:DWORD dst_unused:UNUSED_PAD src0_sel:BYTE_0 src1_sel:DWORD
	;; [unrolled: 1-line block ×4, first 2 shown]
	buffer_store_dword v45, off, s[0:3], 0 offset:240
	buffer_store_dword v46, off, s[0:3], 0 offset:252
	;; [unrolled: 1-line block ×4, first 2 shown]
	buffer_load_dword v19, v36, s[48:51], 0 offen
	s_nop 0
	buffer_load_dword v45, off, s[0:3], 0 offset:256
	buffer_load_dword v46, off, s[0:3], 0 offset:264
	;; [unrolled: 1-line block ×3, first 2 shown]
	s_mul_i32 s8, s34, 60
	s_add_i32 s8, s15, s8
	v_add_u32_e32 v36, s8, v36
	s_waitcnt vmcnt(3)
	v_cndmask_b32_e64 v19, 0, v19, s[6:7]
	s_waitcnt vmcnt(2)
	v_add_u16_e32 v45, v19, v45
	v_add_u16_sdwa v48, v19, v59 dst_sel:DWORD dst_unused:UNUSED_PAD src0_sel:BYTE_3 src1_sel:DWORD
	s_waitcnt vmcnt(1)
	v_add_u16_sdwa v46, v19, v46 dst_sel:DWORD dst_unused:UNUSED_PAD src0_sel:WORD_1 src1_sel:DWORD
	s_waitcnt vmcnt(0)
	v_add_u16_sdwa v19, v19, v47 dst_sel:DWORD dst_unused:UNUSED_PAD src0_sel:BYTE_1 src1_sel:DWORD
	v_max_i16_sdwa v45, sext(v45), v34 dst_sel:DWORD dst_unused:UNUSED_PAD src0_sel:BYTE_0 src1_sel:DWORD
	v_max_i16_sdwa v19, sext(v19), v34 dst_sel:DWORD dst_unused:UNUSED_PAD src0_sel:BYTE_0 src1_sel:DWORD
	;; [unrolled: 1-line block ×4, first 2 shown]
	buffer_store_dword v45, off, s[0:3], 0 offset:256
	buffer_store_dword v47, off, s[0:3], 0 offset:268
	;; [unrolled: 1-line block ×4, first 2 shown]
	buffer_load_dword v45, v36, s[48:51], 0 offen
	v_add_u32_e32 v19, 64, v35
	v_cmp_gt_i32_e64 s[6:7], s23, v19
	s_and_b64 s[8:9], s[6:7], s[4:5]
	v_add_u32_e32 v36, s14, v36
	s_and_b64 s[6:7], s[6:7], vcc
	s_waitcnt vmcnt(0)
	v_cndmask_b32_e64 v45, 0, v45, s[8:9]
	v_add_u16_e32 v25, v45, v25
	v_add_u16_sdwa v27, v45, v27 dst_sel:DWORD dst_unused:UNUSED_PAD src0_sel:BYTE_3 src1_sel:DWORD
	v_add_u16_sdwa v26, v45, v26 dst_sel:DWORD dst_unused:UNUSED_PAD src0_sel:WORD_1 src1_sel:DWORD
	v_add_u16_sdwa v24, v45, v24 dst_sel:DWORD dst_unused:UNUSED_PAD src0_sel:BYTE_1 src1_sel:DWORD
	v_max_i16_sdwa v25, sext(v25), v34 dst_sel:DWORD dst_unused:UNUSED_PAD src0_sel:BYTE_0 src1_sel:DWORD
	v_max_i16_sdwa v24, sext(v24), v34 dst_sel:DWORD dst_unused:UNUSED_PAD src0_sel:BYTE_0 src1_sel:DWORD
	;; [unrolled: 1-line block ×4, first 2 shown]
	buffer_store_dword v25, off, s[0:3], 0 offset:272
	buffer_store_dword v27, off, s[0:3], 0 offset:284
	;; [unrolled: 1-line block ×4, first 2 shown]
	buffer_load_dword v24, v36, s[48:51], 0 offen
	v_add_u32_e32 v25, s15, v36
	s_waitcnt vmcnt(0)
	v_cndmask_b32_e64 v24, 0, v24, s[6:7]
	v_add_u16_e32 v26, v24, v29
	v_add_u16_sdwa v27, v24, v32 dst_sel:DWORD dst_unused:UNUSED_PAD src0_sel:BYTE_3 src1_sel:DWORD
	v_add_u16_sdwa v29, v24, v31 dst_sel:DWORD dst_unused:UNUSED_PAD src0_sel:WORD_1 src1_sel:DWORD
	v_add_u16_sdwa v24, v24, v30 dst_sel:DWORD dst_unused:UNUSED_PAD src0_sel:BYTE_1 src1_sel:DWORD
	v_max_i16_sdwa v26, sext(v26), v34 dst_sel:DWORD dst_unused:UNUSED_PAD src0_sel:BYTE_0 src1_sel:DWORD
	v_max_i16_sdwa v24, sext(v24), v34 dst_sel:DWORD dst_unused:UNUSED_PAD src0_sel:BYTE_0 src1_sel:DWORD
	;; [unrolled: 1-line block ×4, first 2 shown]
	buffer_store_dword v26, off, s[0:3], 0 offset:288
	buffer_store_dword v27, off, s[0:3], 0 offset:300
	;; [unrolled: 1-line block ×4, first 2 shown]
	buffer_load_dword v26, v25, s[48:51], 0 offen
	v_add_u32_e32 v24, 0x41, v35
	v_cmp_gt_i32_e64 s[6:7], s23, v24
	s_and_b64 s[8:9], s[6:7], s[4:5]
	v_add_u32_e32 v25, s14, v25
	s_and_b64 s[6:7], s[6:7], vcc
	s_waitcnt vmcnt(0)
	v_cndmask_b32_e64 v26, 0, v26, s[8:9]
	v_add_u16_e32 v13, v26, v13
	v_add_u16_sdwa v20, v26, v20 dst_sel:DWORD dst_unused:UNUSED_PAD src0_sel:BYTE_3 src1_sel:DWORD
	v_add_u16_sdwa v18, v26, v18 dst_sel:DWORD dst_unused:UNUSED_PAD src0_sel:WORD_1 src1_sel:DWORD
	v_add_u16_sdwa v12, v26, v12 dst_sel:DWORD dst_unused:UNUSED_PAD src0_sel:BYTE_1 src1_sel:DWORD
	v_max_i16_sdwa v13, sext(v13), v34 dst_sel:DWORD dst_unused:UNUSED_PAD src0_sel:BYTE_0 src1_sel:DWORD
	v_max_i16_sdwa v12, sext(v12), v34 dst_sel:DWORD dst_unused:UNUSED_PAD src0_sel:BYTE_0 src1_sel:DWORD
	;; [unrolled: 1-line block ×4, first 2 shown]
	buffer_store_dword v13, off, s[0:3], 0 offset:304
	buffer_store_dword v20, off, s[0:3], 0 offset:316
	;; [unrolled: 1-line block ×4, first 2 shown]
	buffer_load_dword v12, v25, s[48:51], 0 offen
	v_add_u32_e32 v13, s15, v25
	s_waitcnt vmcnt(0)
	v_cndmask_b32_e64 v12, 0, v12, s[6:7]
	v_add_u16_e32 v18, v12, v21
	v_add_u16_sdwa v20, v12, v28 dst_sel:DWORD dst_unused:UNUSED_PAD src0_sel:BYTE_3 src1_sel:DWORD
	v_add_u16_sdwa v21, v12, v23 dst_sel:DWORD dst_unused:UNUSED_PAD src0_sel:WORD_1 src1_sel:DWORD
	v_add_u16_sdwa v12, v12, v22 dst_sel:DWORD dst_unused:UNUSED_PAD src0_sel:BYTE_1 src1_sel:DWORD
	v_max_i16_sdwa v18, sext(v18), v34 dst_sel:DWORD dst_unused:UNUSED_PAD src0_sel:BYTE_0 src1_sel:DWORD
	v_max_i16_sdwa v12, sext(v12), v34 dst_sel:DWORD dst_unused:UNUSED_PAD src0_sel:BYTE_0 src1_sel:DWORD
	;; [unrolled: 1-line block ×4, first 2 shown]
	buffer_store_dword v18, off, s[0:3], 0 offset:320
	buffer_store_dword v20, off, s[0:3], 0 offset:332
	buffer_store_dword v21, off, s[0:3], 0 offset:328
	buffer_store_dword v12, off, s[0:3], 0 offset:324
	buffer_load_dword v12, v13, s[48:51], 0 offen
	v_add_u32_e32 v18, 0x42, v35
	v_cmp_gt_i32_e64 s[6:7], s23, v18
	s_and_b64 s[8:9], s[6:7], s[4:5]
	v_add_u32_e32 v13, s14, v13
	s_and_b64 s[6:7], s[6:7], vcc
	s_waitcnt vmcnt(0)
	v_cndmask_b32_e64 v12, 0, v12, s[8:9]
	v_add_u16_e32 v8, v12, v8
	v_add_u16_sdwa v11, v12, v11 dst_sel:DWORD dst_unused:UNUSED_PAD src0_sel:BYTE_3 src1_sel:DWORD
	v_add_u16_sdwa v10, v12, v10 dst_sel:DWORD dst_unused:UNUSED_PAD src0_sel:WORD_1 src1_sel:DWORD
	v_add_u16_sdwa v9, v12, v9 dst_sel:DWORD dst_unused:UNUSED_PAD src0_sel:BYTE_1 src1_sel:DWORD
	v_max_i16_sdwa v8, sext(v8), v34 dst_sel:DWORD dst_unused:UNUSED_PAD src0_sel:BYTE_0 src1_sel:DWORD
	v_max_i16_sdwa v9, sext(v9), v34 dst_sel:DWORD dst_unused:UNUSED_PAD src0_sel:BYTE_0 src1_sel:DWORD
	;; [unrolled: 1-line block ×4, first 2 shown]
	buffer_store_dword v8, off, s[0:3], 0 offset:336
	buffer_store_dword v11, off, s[0:3], 0 offset:348
	;; [unrolled: 1-line block ×4, first 2 shown]
	buffer_load_dword v8, v13, s[48:51], 0 offen
	v_add_u32_e32 v9, s15, v13
	v_cmp_gt_i32_e64 s[8:9], s12, v35
	s_waitcnt vmcnt(0)
	v_cndmask_b32_e64 v8, 0, v8, s[6:7]
	v_add_u16_e32 v10, v8, v14
	v_add_u16_sdwa v11, v8, v17 dst_sel:DWORD dst_unused:UNUSED_PAD src0_sel:BYTE_3 src1_sel:DWORD
	v_add_u16_sdwa v12, v8, v16 dst_sel:DWORD dst_unused:UNUSED_PAD src0_sel:WORD_1 src1_sel:DWORD
	v_add_u16_sdwa v8, v8, v15 dst_sel:DWORD dst_unused:UNUSED_PAD src0_sel:BYTE_1 src1_sel:DWORD
	v_max_i16_sdwa v10, sext(v10), v34 dst_sel:DWORD dst_unused:UNUSED_PAD src0_sel:BYTE_0 src1_sel:DWORD
	v_max_i16_sdwa v8, sext(v8), v34 dst_sel:DWORD dst_unused:UNUSED_PAD src0_sel:BYTE_0 src1_sel:DWORD
	;; [unrolled: 1-line block ×4, first 2 shown]
	buffer_store_dword v10, off, s[0:3], 0 offset:352
	buffer_store_dword v11, off, s[0:3], 0 offset:364
	;; [unrolled: 1-line block ×4, first 2 shown]
	buffer_load_dword v8, v9, s[48:51], 0 offen
	v_add_u32_e32 v10, 0x43, v35
	v_cmp_gt_i32_e64 s[6:7], s23, v10
	s_and_b64 s[4:5], s[6:7], s[4:5]
	v_add_u32_e32 v9, s14, v9
	s_and_b64 vcc, s[6:7], vcc
	s_waitcnt vmcnt(0)
	v_cndmask_b32_e64 v8, 0, v8, s[4:5]
	v_add_u16_e32 v0, v8, v0
	v_add_u16_sdwa v3, v8, v3 dst_sel:DWORD dst_unused:UNUSED_PAD src0_sel:BYTE_3 src1_sel:DWORD
	v_add_u16_sdwa v2, v8, v2 dst_sel:DWORD dst_unused:UNUSED_PAD src0_sel:WORD_1 src1_sel:DWORD
	v_add_u16_sdwa v1, v8, v1 dst_sel:DWORD dst_unused:UNUSED_PAD src0_sel:BYTE_1 src1_sel:DWORD
	v_max_i16_sdwa v0, sext(v0), v34 dst_sel:DWORD dst_unused:UNUSED_PAD src0_sel:BYTE_0 src1_sel:DWORD
	v_max_i16_sdwa v1, sext(v1), v34 dst_sel:DWORD dst_unused:UNUSED_PAD src0_sel:BYTE_0 src1_sel:DWORD
	;; [unrolled: 1-line block ×4, first 2 shown]
	buffer_store_dword v0, off, s[0:3], 0 offset:368
	buffer_store_dword v3, off, s[0:3], 0 offset:380
	;; [unrolled: 1-line block ×4, first 2 shown]
	buffer_load_dword v2, v9, s[48:51], 0 offen
	v_mul_lo_u32 v0, v35, s10
	v_cmp_gt_i32_e64 s[4:5], s13, v33
	v_mad_u64_u32 v[0:1], s[14:15], v33, s11, v[0:1]
	v_bfrev_b32_e32 v3, 1
	s_and_b64 s[14:15], s[8:9], s[4:5]
	v_lshlrev_b16_e32 v8, 8, v39
	v_lshlrev_b16_e32 v9, 8, v37
	v_cndmask_b32_e64 v1, v3, 0, s[14:15]
	v_or_b32_e32 v8, v40, v8
	v_or_b32_sdwa v9, v38, v9 dst_sel:WORD_1 dst_unused:UNUSED_PAD src0_sel:DWORD src1_sel:DWORD
	v_add_u32_e32 v1, v1, v0
	v_or_b32_sdwa v8, v8, v9 dst_sel:DWORD dst_unused:UNUSED_PAD src0_sel:WORD_0 src1_sel:DWORD
	s_lshl_b32 s15, s11, 6
	s_mov_b32 s14, 0xc0c0500
	s_waitcnt vmcnt(0)
	v_cndmask_b32_e32 v2, 0, v2, vcc
	v_add_u16_e32 v4, v2, v4
	v_add_u16_sdwa v7, v2, v7 dst_sel:DWORD dst_unused:UNUSED_PAD src0_sel:BYTE_3 src1_sel:DWORD
	v_add_u16_sdwa v6, v2, v6 dst_sel:DWORD dst_unused:UNUSED_PAD src0_sel:WORD_1 src1_sel:DWORD
	v_add_u16_sdwa v2, v2, v5 dst_sel:DWORD dst_unused:UNUSED_PAD src0_sel:BYTE_1 src1_sel:DWORD
	v_max_i16_sdwa v4, sext(v4), v34 dst_sel:DWORD dst_unused:UNUSED_PAD src0_sel:BYTE_0 src1_sel:DWORD
	v_max_i16_sdwa v2, sext(v2), v34 dst_sel:DWORD dst_unused:UNUSED_PAD src0_sel:BYTE_0 src1_sel:DWORD
	;; [unrolled: 1-line block ×4, first 2 shown]
	buffer_store_dword v4, off, s[0:3], 0 offset:384
	buffer_store_dword v6, off, s[0:3], 0 offset:396
	buffer_store_dword v5, off, s[0:3], 0 offset:392
	buffer_store_dword v2, off, s[0:3], 0 offset:388
	buffer_store_dword v8, v1, s[44:47], 0 offen
	buffer_load_dword v1, off, s[0:3], 0 offset:164
	s_nop 0
	buffer_load_dword v2, off, s[0:3], 0 offset:168
	buffer_load_dword v4, off, s[0:3], 0 offset:172
	;; [unrolled: 1-line block ×3, first 2 shown]
	v_cmp_gt_i32_e32 vcc, s13, v41
	s_and_b64 s[6:7], s[8:9], vcc
	v_add_u32_e32 v6, s15, v0
	v_cndmask_b32_e64 v7, v3, 0, s[6:7]
	v_add_u32_e32 v7, v7, v6
	v_cmp_gt_i32_e64 s[6:7], s12, v42
	s_and_b64 s[8:9], s[6:7], vcc
	v_add_u32_e32 v6, s10, v6
	s_and_b64 s[6:7], s[6:7], s[4:5]
	v_add_u32_e32 v0, s10, v0
	s_lshl_b32 s13, s10, 6
	s_waitcnt vmcnt(3)
	v_lshlrev_b32_e32 v1, 8, v1
	s_waitcnt vmcnt(2)
	v_lshlrev_b32_e32 v2, 16, v2
	;; [unrolled: 2-line block ×3, first 2 shown]
	v_and_b32_e32 v2, 0xff0000, v2
	s_waitcnt vmcnt(0)
	v_perm_b32 v1, v1, v5, s14
	v_or3_b32 v1, v1, v2, v4
	buffer_store_dword v1, v7, s[44:47], 0 offen
	buffer_load_dword v1, off, s[0:3], 0 offset:196
	s_nop 0
	buffer_load_dword v2, off, s[0:3], 0 offset:200
	buffer_load_dword v4, off, s[0:3], 0 offset:204
	;; [unrolled: 1-line block ×3, first 2 shown]
	v_cndmask_b32_e64 v7, v3, 0, s[8:9]
	v_add_u32_e32 v7, v7, v6
	v_add_u32_e32 v6, s10, v6
	s_waitcnt vmcnt(3)
	v_lshlrev_b32_e32 v1, 8, v1
	s_waitcnt vmcnt(2)
	v_lshlrev_b32_e32 v2, 16, v2
	;; [unrolled: 2-line block ×3, first 2 shown]
	v_and_b32_e32 v2, 0xff0000, v2
	s_waitcnt vmcnt(0)
	v_perm_b32 v1, v1, v5, s14
	v_or3_b32 v1, v1, v2, v4
	buffer_store_dword v1, v7, s[44:47], 0 offen
	buffer_load_dword v1, off, s[0:3], 0 offset:180
	s_nop 0
	buffer_load_dword v2, off, s[0:3], 0 offset:184
	buffer_load_dword v4, off, s[0:3], 0 offset:188
	;; [unrolled: 1-line block ×3, first 2 shown]
	v_cndmask_b32_e64 v7, v3, 0, s[6:7]
	v_add_u32_e32 v7, v0, v7
	v_cmp_gt_i32_e64 s[6:7], s12, v43
	s_and_b64 s[8:9], s[6:7], s[4:5]
	s_and_b64 s[6:7], s[6:7], vcc
	s_waitcnt vmcnt(3)
	v_lshlrev_b32_e32 v1, 8, v1
	s_waitcnt vmcnt(2)
	v_lshlrev_b32_e32 v2, 16, v2
	;; [unrolled: 2-line block ×3, first 2 shown]
	v_and_b32_e32 v2, 0xff0000, v2
	s_waitcnt vmcnt(0)
	v_perm_b32 v1, v1, v5, s14
	v_or3_b32 v1, v1, v2, v4
	buffer_store_dword v1, v7, s[44:47], 0 offen
	buffer_load_dword v1, off, s[0:3], 0 offset:212
	s_nop 0
	buffer_load_dword v2, off, s[0:3], 0 offset:216
	buffer_load_dword v4, off, s[0:3], 0 offset:220
	;; [unrolled: 1-line block ×3, first 2 shown]
	v_cndmask_b32_e64 v7, v3, 0, s[8:9]
	v_add3_u32 v0, v7, s10, v0
	s_waitcnt vmcnt(3)
	v_lshlrev_b32_e32 v1, 8, v1
	s_waitcnt vmcnt(2)
	v_lshlrev_b32_e32 v2, 16, v2
	;; [unrolled: 2-line block ×3, first 2 shown]
	v_and_b32_e32 v2, 0xff0000, v2
	s_waitcnt vmcnt(0)
	v_perm_b32 v1, v1, v5, s14
	v_or3_b32 v1, v1, v2, v4
	buffer_store_dword v1, v0, s[44:47], 0 offen
	buffer_load_dword v0, off, s[0:3], 0 offset:228
	s_nop 0
	buffer_load_dword v1, off, s[0:3], 0 offset:232
	buffer_load_dword v2, off, s[0:3], 0 offset:236
	;; [unrolled: 1-line block ×3, first 2 shown]
	v_cndmask_b32_e64 v5, v3, 0, s[6:7]
	v_add_u32_e32 v5, v6, v5
	v_cmp_gt_i32_e64 s[6:7], s12, v44
	s_and_b64 s[8:9], s[6:7], vcc
	v_add_u32_e32 v6, s10, v6
	s_and_b64 s[6:7], s[6:7], s[4:5]
	s_waitcnt vmcnt(3)
	v_lshlrev_b32_e32 v0, 8, v0
	s_waitcnt vmcnt(2)
	v_lshlrev_b32_e32 v1, 16, v1
	;; [unrolled: 2-line block ×3, first 2 shown]
	v_and_b32_e32 v1, 0xff0000, v1
	s_waitcnt vmcnt(0)
	v_perm_b32 v0, v0, v4, s14
	v_or3_b32 v0, v0, v1, v2
	buffer_store_dword v0, v5, s[44:47], 0 offen
	buffer_load_dword v0, off, s[0:3], 0 offset:260
	s_nop 0
	buffer_load_dword v1, off, s[0:3], 0 offset:264
	buffer_load_dword v2, off, s[0:3], 0 offset:268
	;; [unrolled: 1-line block ×3, first 2 shown]
	v_cndmask_b32_e64 v5, v3, 0, s[8:9]
	v_add_u32_e32 v5, v6, v5
	v_subrev_u32_e32 v6, s15, v6
	s_waitcnt vmcnt(3)
	v_lshlrev_b32_e32 v0, 8, v0
	s_waitcnt vmcnt(2)
	v_lshlrev_b32_e32 v1, 16, v1
	;; [unrolled: 2-line block ×3, first 2 shown]
	v_and_b32_e32 v1, 0xff0000, v1
	s_waitcnt vmcnt(0)
	v_perm_b32 v0, v0, v4, s14
	v_or3_b32 v0, v0, v1, v2
	buffer_store_dword v0, v5, s[44:47], 0 offen
	buffer_load_dword v0, off, s[0:3], 0 offset:244
	s_nop 0
	buffer_load_dword v1, off, s[0:3], 0 offset:248
	buffer_load_dword v2, off, s[0:3], 0 offset:252
	;; [unrolled: 1-line block ×3, first 2 shown]
	v_cndmask_b32_e64 v5, v3, 0, s[6:7]
	v_add_u32_e32 v5, v6, v5
	v_cmp_gt_i32_e64 s[6:7], s12, v10
	s_and_b64 s[8:9], s[6:7], s[4:5]
	s_and_b64 s[6:7], s[6:7], vcc
	s_waitcnt vmcnt(3)
	v_lshlrev_b32_e32 v0, 8, v0
	s_waitcnt vmcnt(2)
	v_lshlrev_b32_e32 v1, 16, v1
	;; [unrolled: 2-line block ×3, first 2 shown]
	v_and_b32_e32 v1, 0xff0000, v1
	s_waitcnt vmcnt(0)
	v_perm_b32 v0, v0, v4, s14
	v_or3_b32 v0, v0, v1, v2
	buffer_store_dword v0, v5, s[44:47], 0 offen
	buffer_load_dword v0, off, s[0:3], 0 offset:372
	s_nop 0
	buffer_load_dword v1, off, s[0:3], 0 offset:376
	buffer_load_dword v2, off, s[0:3], 0 offset:380
	;; [unrolled: 1-line block ×3, first 2 shown]
	v_cndmask_b32_e64 v5, v3, 0, s[8:9]
	v_add3_u32 v5, v5, s13, v6
	s_add_i32 s8, s11, s10
	v_lshl_add_u32 v6, s8, 6, v6
	s_waitcnt vmcnt(3)
	v_lshlrev_b32_e32 v0, 8, v0
	s_waitcnt vmcnt(2)
	v_lshlrev_b32_e32 v1, 16, v1
	;; [unrolled: 2-line block ×3, first 2 shown]
	v_and_b32_e32 v1, 0xff0000, v1
	s_waitcnt vmcnt(0)
	v_perm_b32 v0, v0, v4, s14
	v_or3_b32 v0, v0, v1, v2
	buffer_store_dword v0, v5, s[44:47], 0 offen
	buffer_load_dword v0, off, s[0:3], 0 offset:388
	s_nop 0
	buffer_load_dword v1, off, s[0:3], 0 offset:392
	buffer_load_dword v2, off, s[0:3], 0 offset:396
	;; [unrolled: 1-line block ×3, first 2 shown]
	v_cndmask_b32_e64 v5, v3, 0, s[6:7]
	v_add_u32_e32 v5, v6, v5
	v_cmp_ge_i32_e64 s[6:7], s12, v10
	s_and_b64 s[6:7], s[6:7], vcc
	v_subrev_u32_e32 v6, s10, v6
	s_waitcnt vmcnt(3)
	v_lshlrev_b32_e32 v0, 8, v0
	s_waitcnt vmcnt(2)
	v_lshlrev_b32_e32 v1, 16, v1
	;; [unrolled: 2-line block ×3, first 2 shown]
	v_and_b32_e32 v1, 0xff0000, v1
	s_waitcnt vmcnt(0)
	v_perm_b32 v0, v0, v4, s14
	v_or3_b32 v0, v0, v1, v2
	buffer_store_dword v0, v5, s[44:47], 0 offen
	buffer_load_dword v0, off, s[0:3], 0 offset:356
	s_nop 0
	buffer_load_dword v1, off, s[0:3], 0 offset:360
	buffer_load_dword v2, off, s[0:3], 0 offset:364
	;; [unrolled: 1-line block ×3, first 2 shown]
	v_cndmask_b32_e64 v5, v3, 0, s[6:7]
	v_add_u32_e32 v5, v6, v5
	v_cmp_gt_i32_e64 s[6:7], s12, v18
	s_and_b64 s[6:7], s[6:7], s[4:5]
	v_subrev_u32_e32 v6, s15, v6
	s_waitcnt vmcnt(3)
	v_lshlrev_b32_e32 v0, 8, v0
	s_waitcnt vmcnt(2)
	v_lshlrev_b32_e32 v1, 16, v1
	;; [unrolled: 2-line block ×3, first 2 shown]
	v_and_b32_e32 v1, 0xff0000, v1
	s_waitcnt vmcnt(0)
	v_perm_b32 v0, v0, v4, s14
	v_or3_b32 v0, v0, v1, v2
	buffer_store_dword v0, v5, s[44:47], 0 offen
	buffer_load_dword v0, off, s[0:3], 0 offset:340
	s_nop 0
	buffer_load_dword v1, off, s[0:3], 0 offset:344
	buffer_load_dword v2, off, s[0:3], 0 offset:348
	;; [unrolled: 1-line block ×3, first 2 shown]
	v_cndmask_b32_e64 v5, v3, 0, s[6:7]
	v_add_u32_e32 v5, v6, v5
	v_cmp_ge_i32_e64 s[6:7], s12, v18
	s_and_b64 s[6:7], s[6:7], s[4:5]
	v_subrev_u32_e32 v6, s10, v6
	s_waitcnt vmcnt(3)
	v_lshlrev_b32_e32 v0, 8, v0
	s_waitcnt vmcnt(2)
	v_lshlrev_b32_e32 v1, 16, v1
	;; [unrolled: 2-line block ×3, first 2 shown]
	v_and_b32_e32 v1, 0xff0000, v1
	s_waitcnt vmcnt(0)
	v_perm_b32 v0, v0, v4, s14
	v_or3_b32 v0, v0, v1, v2
	buffer_store_dword v0, v5, s[44:47], 0 offen
	buffer_load_dword v0, off, s[0:3], 0 offset:308
	s_nop 0
	buffer_load_dword v1, off, s[0:3], 0 offset:312
	buffer_load_dword v2, off, s[0:3], 0 offset:316
	;; [unrolled: 1-line block ×3, first 2 shown]
	v_cndmask_b32_e64 v5, v3, 0, s[6:7]
	v_add_u32_e32 v5, v6, v5
	v_cmp_gt_i32_e64 s[6:7], s12, v24
	s_and_b64 s[6:7], s[6:7], vcc
	v_add_u32_e32 v6, s15, v6
	s_waitcnt vmcnt(3)
	v_lshlrev_b32_e32 v0, 8, v0
	s_waitcnt vmcnt(2)
	v_lshlrev_b32_e32 v1, 16, v1
	s_waitcnt vmcnt(1)
	v_lshlrev_b32_e32 v2, 24, v2
	v_and_b32_e32 v1, 0xff0000, v1
	s_waitcnt vmcnt(0)
	v_perm_b32 v0, v0, v4, s14
	v_or3_b32 v0, v0, v1, v2
	buffer_store_dword v0, v5, s[44:47], 0 offen
	buffer_load_dword v0, off, s[0:3], 0 offset:324
	s_nop 0
	buffer_load_dword v1, off, s[0:3], 0 offset:328
	buffer_load_dword v2, off, s[0:3], 0 offset:332
	;; [unrolled: 1-line block ×3, first 2 shown]
	v_cndmask_b32_e64 v5, v3, 0, s[6:7]
	v_add_u32_e32 v5, v6, v5
	v_cmp_ge_i32_e64 s[6:7], s12, v24
	s_and_b64 s[6:7], s[6:7], vcc
	v_subrev_u32_e32 v6, s10, v6
	v_cmp_gt_i32_e32 vcc, s12, v19
	s_and_b64 s[4:5], vcc, s[4:5]
	s_waitcnt vmcnt(3)
	v_lshlrev_b32_e32 v0, 8, v0
	s_waitcnt vmcnt(2)
	v_lshlrev_b32_e32 v1, 16, v1
	;; [unrolled: 2-line block ×3, first 2 shown]
	v_and_b32_e32 v1, 0xff0000, v1
	s_waitcnt vmcnt(0)
	v_perm_b32 v0, v0, v4, s14
	v_or3_b32 v0, v0, v1, v2
	buffer_store_dword v0, v5, s[44:47], 0 offen
	buffer_load_dword v0, off, s[0:3], 0 offset:292
	s_nop 0
	buffer_load_dword v1, off, s[0:3], 0 offset:296
	buffer_load_dword v2, off, s[0:3], 0 offset:300
	;; [unrolled: 1-line block ×3, first 2 shown]
	v_cndmask_b32_e64 v5, v3, 0, s[6:7]
	v_add_u32_e32 v5, v6, v5
	v_cndmask_b32_e64 v3, v3, 0, s[4:5]
	v_subrev_u32_e32 v3, s15, v3
	s_waitcnt vmcnt(3)
	v_lshlrev_b32_e32 v0, 8, v0
	s_waitcnt vmcnt(2)
	v_lshlrev_b32_e32 v1, 16, v1
	;; [unrolled: 2-line block ×3, first 2 shown]
	v_and_b32_e32 v1, 0xff0000, v1
	s_waitcnt vmcnt(0)
	v_perm_b32 v0, v0, v4, s14
	v_or3_b32 v0, v0, v1, v2
	buffer_store_dword v0, v5, s[44:47], 0 offen
	buffer_load_dword v0, off, s[0:3], 0 offset:276
	s_nop 0
	buffer_load_dword v1, off, s[0:3], 0 offset:280
	buffer_load_dword v2, off, s[0:3], 0 offset:284
	;; [unrolled: 1-line block ×3, first 2 shown]
	s_waitcnt vmcnt(3)
	v_lshlrev_b32_e32 v0, 8, v0
	s_waitcnt vmcnt(2)
	v_lshlrev_b32_e32 v1, 16, v1
	;; [unrolled: 2-line block ×3, first 2 shown]
	v_and_b32_e32 v1, 0xff0000, v1
	s_waitcnt vmcnt(0)
	v_perm_b32 v0, v0, v4, s14
	v_or3_b32 v0, v0, v1, v2
	v_add_u32_e32 v1, v3, v6
	buffer_store_dword v0, v1, s[44:47], 0 offen
	s_endpgm
	.section	.rodata,"a",@progbits
	.p2align	6, 0x0
	.amdhsa_kernel _ZN2ck16tensor_operation6device12_GLOBAL__N_137kernel_grouped_conv_fwd_dl_multiple_dINS_32GridwiseGemmDlMultipleD_km_kn_mnILi256EaiNS_5TupleIJaEEEaNS0_12element_wise11PassThroughES8_NS7_7AddReluELNS_25InMemoryDataOperationEnumE0ENS_16TensorDescriptorINS5_IJNS_5EmbedINS5_IJiiiiiEEESD_Lb0EEENS_11PassThroughIiEENS_3PadIiiiLb0EEESI_SI_SG_SG_NSC_INS5_IJiiEEESJ_Lb0EEESK_SK_SG_NS_23Merge_v2_magic_divisionINS5_IJiiiiEEEEESN_NS_8RightPadIiiLb0EEESP_NS_7UnMergeISJ_Lb0EEESG_EEENS5_IJNS_8SequenceIJLi0EEEENST_IJLi1EEEENST_IJLi2EEEENST_IJLi3EEEENST_IJLi4EEEENST_IJLi5EEEENST_IJLi6EEEENST_IJLi7EEEENST_IJLi8EEEENST_IJLi9EEEENST_IJLi10EEEENST_IJLi11ELi13ELi15ELi17EEEENST_IJLi12ELi14ELi16ELi18EEEENST_IJLi19EEEENST_IJLi20EEEENST_IJLi22EEEENST_IJLi21EEEEEEENS5_IJNST_IJLi1ELi2ELi3ELi4ELi5EEEES10_S11_S12_S13_S14_NST_IJLi11EEEENST_IJLi12ELi13EEEENST_IJLi14ELi15EEEENST_IJLi16ELi17EEEENST_IJLi18EEEES17_S18_S1A_S19_NST_IJLi23ELi24EEEENST_IJLi25EEEEEEENST_IJLi23ELi25ELi24EEEElEENSB_INS5_IJSR_SP_SP_SR_SG_EEENS5_IJSU_SV_SW_SY_SX_EEENS5_IJNST_IJLi1ELi2EEEESX_SY_NST_IJLi5ELi6EEEES11_EEENST_IJLi5ELi7ELi6EEEElEENSB_INS5_IJSK_SP_SP_EEENS5_IJSU_SV_SW_EEENS5_IJS1P_SX_SY_EEENST_IJLi3ELi4EEEElEELi128ELi128ELi16ELi4ELi4ELi4ELi1ENST_IJLi8ELi2EEEES1Z_NST_IJLi8ELi1ELi1ELi4EEEENST_IJLi2ELi1ELi128ELi1EEEENST_IJLi1ELi2ELi0ELi3EEEES22_NST_IJLi4ELi1ELi1ELi4EEEES22_NST_IJLi1ELi1ELi1ELi4EEEES20_S21_S22_S22_S23_S22_S24_NST_IJLi0ELi1ELi2ELi3ELi4ELi5EEEELi5ELi4EEEaNS5_IJPKaEEEaS8_S8_S9_NSB_INS5_IJSE_SG_SI_SI_SI_SG_SG_SK_SK_SK_SG_SN_SN_SP_SP_SR_SG_SG_NSQ_INS5_IJiNS_17integral_constantIiLi128EEEEEELb0EEENSF_INS2A_IiLi4EEEEEEEENS5_IJSU_SV_SW_SX_SY_SZ_S10_S11_S12_S13_S14_S15_S16_S17_S18_S19_S1A_NST_IJLi23EEEES1J_NST_IJLi24EEEEEEENS5_IJS1C_S10_S11_S12_S13_S14_S1D_S1E_S1F_S1G_S1H_S17_S18_S1A_S19_S1I_S1J_NST_IJLi26EEEENST_IJLi27ELi28EEEENST_IJLi29EEEEEEENST_IJLi26ELi27ELi28ELi29EEEElEENSB_INS5_IJSR_SP_SP_SR_SG_SG_S2D_S2F_EEENS5_IJSU_SV_SW_SY_SX_SZ_S11_S10_EEENS5_IJS1P_SX_SY_S1Q_S11_S12_NST_IJLi9ELi10EEEES1D_EEENST_IJLi8ELi9ELi10ELi11EEEElEENS5_IJNSB_INS5_IJSK_SP_SP_NSQ_INS5_IJiNS2A_IiLi2EEENS2A_IiLi64EEEEEELb0EEES2Z_EEENS5_IJSU_SV_SW_SX_SY_EEENS5_IJS1P_SX_SY_NST_IJLi5ELi6ELi7EEEENST_IJLi8ELi9ELi10EEEEEEENST_IJLi5ELi6ELi7ELi8ELi9ELi10EEEElEEEEES36_NS_31BlockToCTileMap_M00_N00_M01_N01ILi128ELi128ES1Y_Lb0EEENS1_30ComputePtrOffsetOfStridedBatchILi1ELi1ELi1EvEELb0ELb0EEEvPKT0_S3E_T1_PT2_T3_T4_T5_iT6_T7_T8_T9_T10_T11_
		.amdhsa_group_segment_fixed_size 32768
		.amdhsa_private_segment_fixed_size 448
		.amdhsa_kernarg_size 1024
		.amdhsa_user_sgpr_count 8
		.amdhsa_user_sgpr_private_segment_buffer 1
		.amdhsa_user_sgpr_dispatch_ptr 0
		.amdhsa_user_sgpr_queue_ptr 0
		.amdhsa_user_sgpr_kernarg_segment_ptr 1
		.amdhsa_user_sgpr_dispatch_id 0
		.amdhsa_user_sgpr_flat_scratch_init 1
		.amdhsa_user_sgpr_kernarg_preload_length 0
		.amdhsa_user_sgpr_kernarg_preload_offset 0
		.amdhsa_user_sgpr_private_segment_size 0
		.amdhsa_uses_dynamic_stack 0
		.amdhsa_system_sgpr_private_segment_wavefront_offset 1
		.amdhsa_system_sgpr_workgroup_id_x 1
		.amdhsa_system_sgpr_workgroup_id_y 0
		.amdhsa_system_sgpr_workgroup_id_z 0
		.amdhsa_system_sgpr_workgroup_info 0
		.amdhsa_system_vgpr_workitem_id 0
		.amdhsa_next_free_vgpr 60
		.amdhsa_next_free_sgpr 84
		.amdhsa_accum_offset 60
		.amdhsa_reserve_vcc 1
		.amdhsa_reserve_flat_scratch 1
		.amdhsa_float_round_mode_32 0
		.amdhsa_float_round_mode_16_64 0
		.amdhsa_float_denorm_mode_32 3
		.amdhsa_float_denorm_mode_16_64 3
		.amdhsa_dx10_clamp 1
		.amdhsa_ieee_mode 1
		.amdhsa_fp16_overflow 0
		.amdhsa_tg_split 0
		.amdhsa_exception_fp_ieee_invalid_op 0
		.amdhsa_exception_fp_denorm_src 0
		.amdhsa_exception_fp_ieee_div_zero 0
		.amdhsa_exception_fp_ieee_overflow 0
		.amdhsa_exception_fp_ieee_underflow 0
		.amdhsa_exception_fp_ieee_inexact 0
		.amdhsa_exception_int_div_zero 0
	.end_amdhsa_kernel
	.section	.text._ZN2ck16tensor_operation6device12_GLOBAL__N_137kernel_grouped_conv_fwd_dl_multiple_dINS_32GridwiseGemmDlMultipleD_km_kn_mnILi256EaiNS_5TupleIJaEEEaNS0_12element_wise11PassThroughES8_NS7_7AddReluELNS_25InMemoryDataOperationEnumE0ENS_16TensorDescriptorINS5_IJNS_5EmbedINS5_IJiiiiiEEESD_Lb0EEENS_11PassThroughIiEENS_3PadIiiiLb0EEESI_SI_SG_SG_NSC_INS5_IJiiEEESJ_Lb0EEESK_SK_SG_NS_23Merge_v2_magic_divisionINS5_IJiiiiEEEEESN_NS_8RightPadIiiLb0EEESP_NS_7UnMergeISJ_Lb0EEESG_EEENS5_IJNS_8SequenceIJLi0EEEENST_IJLi1EEEENST_IJLi2EEEENST_IJLi3EEEENST_IJLi4EEEENST_IJLi5EEEENST_IJLi6EEEENST_IJLi7EEEENST_IJLi8EEEENST_IJLi9EEEENST_IJLi10EEEENST_IJLi11ELi13ELi15ELi17EEEENST_IJLi12ELi14ELi16ELi18EEEENST_IJLi19EEEENST_IJLi20EEEENST_IJLi22EEEENST_IJLi21EEEEEEENS5_IJNST_IJLi1ELi2ELi3ELi4ELi5EEEES10_S11_S12_S13_S14_NST_IJLi11EEEENST_IJLi12ELi13EEEENST_IJLi14ELi15EEEENST_IJLi16ELi17EEEENST_IJLi18EEEES17_S18_S1A_S19_NST_IJLi23ELi24EEEENST_IJLi25EEEEEEENST_IJLi23ELi25ELi24EEEElEENSB_INS5_IJSR_SP_SP_SR_SG_EEENS5_IJSU_SV_SW_SY_SX_EEENS5_IJNST_IJLi1ELi2EEEESX_SY_NST_IJLi5ELi6EEEES11_EEENST_IJLi5ELi7ELi6EEEElEENSB_INS5_IJSK_SP_SP_EEENS5_IJSU_SV_SW_EEENS5_IJS1P_SX_SY_EEENST_IJLi3ELi4EEEElEELi128ELi128ELi16ELi4ELi4ELi4ELi1ENST_IJLi8ELi2EEEES1Z_NST_IJLi8ELi1ELi1ELi4EEEENST_IJLi2ELi1ELi128ELi1EEEENST_IJLi1ELi2ELi0ELi3EEEES22_NST_IJLi4ELi1ELi1ELi4EEEES22_NST_IJLi1ELi1ELi1ELi4EEEES20_S21_S22_S22_S23_S22_S24_NST_IJLi0ELi1ELi2ELi3ELi4ELi5EEEELi5ELi4EEEaNS5_IJPKaEEEaS8_S8_S9_NSB_INS5_IJSE_SG_SI_SI_SI_SG_SG_SK_SK_SK_SG_SN_SN_SP_SP_SR_SG_SG_NSQ_INS5_IJiNS_17integral_constantIiLi128EEEEEELb0EEENSF_INS2A_IiLi4EEEEEEEENS5_IJSU_SV_SW_SX_SY_SZ_S10_S11_S12_S13_S14_S15_S16_S17_S18_S19_S1A_NST_IJLi23EEEES1J_NST_IJLi24EEEEEEENS5_IJS1C_S10_S11_S12_S13_S14_S1D_S1E_S1F_S1G_S1H_S17_S18_S1A_S19_S1I_S1J_NST_IJLi26EEEENST_IJLi27ELi28EEEENST_IJLi29EEEEEEENST_IJLi26ELi27ELi28ELi29EEEElEENSB_INS5_IJSR_SP_SP_SR_SG_SG_S2D_S2F_EEENS5_IJSU_SV_SW_SY_SX_SZ_S11_S10_EEENS5_IJS1P_SX_SY_S1Q_S11_S12_NST_IJLi9ELi10EEEES1D_EEENST_IJLi8ELi9ELi10ELi11EEEElEENS5_IJNSB_INS5_IJSK_SP_SP_NSQ_INS5_IJiNS2A_IiLi2EEENS2A_IiLi64EEEEEELb0EEES2Z_EEENS5_IJSU_SV_SW_SX_SY_EEENS5_IJS1P_SX_SY_NST_IJLi5ELi6ELi7EEEENST_IJLi8ELi9ELi10EEEEEEENST_IJLi5ELi6ELi7ELi8ELi9ELi10EEEElEEEEES36_NS_31BlockToCTileMap_M00_N00_M01_N01ILi128ELi128ES1Y_Lb0EEENS1_30ComputePtrOffsetOfStridedBatchILi1ELi1ELi1EvEELb0ELb0EEEvPKT0_S3E_T1_PT2_T3_T4_T5_iT6_T7_T8_T9_T10_T11_,"axG",@progbits,_ZN2ck16tensor_operation6device12_GLOBAL__N_137kernel_grouped_conv_fwd_dl_multiple_dINS_32GridwiseGemmDlMultipleD_km_kn_mnILi256EaiNS_5TupleIJaEEEaNS0_12element_wise11PassThroughES8_NS7_7AddReluELNS_25InMemoryDataOperationEnumE0ENS_16TensorDescriptorINS5_IJNS_5EmbedINS5_IJiiiiiEEESD_Lb0EEENS_11PassThroughIiEENS_3PadIiiiLb0EEESI_SI_SG_SG_NSC_INS5_IJiiEEESJ_Lb0EEESK_SK_SG_NS_23Merge_v2_magic_divisionINS5_IJiiiiEEEEESN_NS_8RightPadIiiLb0EEESP_NS_7UnMergeISJ_Lb0EEESG_EEENS5_IJNS_8SequenceIJLi0EEEENST_IJLi1EEEENST_IJLi2EEEENST_IJLi3EEEENST_IJLi4EEEENST_IJLi5EEEENST_IJLi6EEEENST_IJLi7EEEENST_IJLi8EEEENST_IJLi9EEEENST_IJLi10EEEENST_IJLi11ELi13ELi15ELi17EEEENST_IJLi12ELi14ELi16ELi18EEEENST_IJLi19EEEENST_IJLi20EEEENST_IJLi22EEEENST_IJLi21EEEEEEENS5_IJNST_IJLi1ELi2ELi3ELi4ELi5EEEES10_S11_S12_S13_S14_NST_IJLi11EEEENST_IJLi12ELi13EEEENST_IJLi14ELi15EEEENST_IJLi16ELi17EEEENST_IJLi18EEEES17_S18_S1A_S19_NST_IJLi23ELi24EEEENST_IJLi25EEEEEEENST_IJLi23ELi25ELi24EEEElEENSB_INS5_IJSR_SP_SP_SR_SG_EEENS5_IJSU_SV_SW_SY_SX_EEENS5_IJNST_IJLi1ELi2EEEESX_SY_NST_IJLi5ELi6EEEES11_EEENST_IJLi5ELi7ELi6EEEElEENSB_INS5_IJSK_SP_SP_EEENS5_IJSU_SV_SW_EEENS5_IJS1P_SX_SY_EEENST_IJLi3ELi4EEEElEELi128ELi128ELi16ELi4ELi4ELi4ELi1ENST_IJLi8ELi2EEEES1Z_NST_IJLi8ELi1ELi1ELi4EEEENST_IJLi2ELi1ELi128ELi1EEEENST_IJLi1ELi2ELi0ELi3EEEES22_NST_IJLi4ELi1ELi1ELi4EEEES22_NST_IJLi1ELi1ELi1ELi4EEEES20_S21_S22_S22_S23_S22_S24_NST_IJLi0ELi1ELi2ELi3ELi4ELi5EEEELi5ELi4EEEaNS5_IJPKaEEEaS8_S8_S9_NSB_INS5_IJSE_SG_SI_SI_SI_SG_SG_SK_SK_SK_SG_SN_SN_SP_SP_SR_SG_SG_NSQ_INS5_IJiNS_17integral_constantIiLi128EEEEEELb0EEENSF_INS2A_IiLi4EEEEEEEENS5_IJSU_SV_SW_SX_SY_SZ_S10_S11_S12_S13_S14_S15_S16_S17_S18_S19_S1A_NST_IJLi23EEEES1J_NST_IJLi24EEEEEEENS5_IJS1C_S10_S11_S12_S13_S14_S1D_S1E_S1F_S1G_S1H_S17_S18_S1A_S19_S1I_S1J_NST_IJLi26EEEENST_IJLi27ELi28EEEENST_IJLi29EEEEEEENST_IJLi26ELi27ELi28ELi29EEEElEENSB_INS5_IJSR_SP_SP_SR_SG_SG_S2D_S2F_EEENS5_IJSU_SV_SW_SY_SX_SZ_S11_S10_EEENS5_IJS1P_SX_SY_S1Q_S11_S12_NST_IJLi9ELi10EEEES1D_EEENST_IJLi8ELi9ELi10ELi11EEEElEENS5_IJNSB_INS5_IJSK_SP_SP_NSQ_INS5_IJiNS2A_IiLi2EEENS2A_IiLi64EEEEEELb0EEES2Z_EEENS5_IJSU_SV_SW_SX_SY_EEENS5_IJS1P_SX_SY_NST_IJLi5ELi6ELi7EEEENST_IJLi8ELi9ELi10EEEEEEENST_IJLi5ELi6ELi7ELi8ELi9ELi10EEEElEEEEES36_NS_31BlockToCTileMap_M00_N00_M01_N01ILi128ELi128ES1Y_Lb0EEENS1_30ComputePtrOffsetOfStridedBatchILi1ELi1ELi1EvEELb0ELb0EEEvPKT0_S3E_T1_PT2_T3_T4_T5_iT6_T7_T8_T9_T10_T11_,comdat
.Lfunc_end13:
	.size	_ZN2ck16tensor_operation6device12_GLOBAL__N_137kernel_grouped_conv_fwd_dl_multiple_dINS_32GridwiseGemmDlMultipleD_km_kn_mnILi256EaiNS_5TupleIJaEEEaNS0_12element_wise11PassThroughES8_NS7_7AddReluELNS_25InMemoryDataOperationEnumE0ENS_16TensorDescriptorINS5_IJNS_5EmbedINS5_IJiiiiiEEESD_Lb0EEENS_11PassThroughIiEENS_3PadIiiiLb0EEESI_SI_SG_SG_NSC_INS5_IJiiEEESJ_Lb0EEESK_SK_SG_NS_23Merge_v2_magic_divisionINS5_IJiiiiEEEEESN_NS_8RightPadIiiLb0EEESP_NS_7UnMergeISJ_Lb0EEESG_EEENS5_IJNS_8SequenceIJLi0EEEENST_IJLi1EEEENST_IJLi2EEEENST_IJLi3EEEENST_IJLi4EEEENST_IJLi5EEEENST_IJLi6EEEENST_IJLi7EEEENST_IJLi8EEEENST_IJLi9EEEENST_IJLi10EEEENST_IJLi11ELi13ELi15ELi17EEEENST_IJLi12ELi14ELi16ELi18EEEENST_IJLi19EEEENST_IJLi20EEEENST_IJLi22EEEENST_IJLi21EEEEEEENS5_IJNST_IJLi1ELi2ELi3ELi4ELi5EEEES10_S11_S12_S13_S14_NST_IJLi11EEEENST_IJLi12ELi13EEEENST_IJLi14ELi15EEEENST_IJLi16ELi17EEEENST_IJLi18EEEES17_S18_S1A_S19_NST_IJLi23ELi24EEEENST_IJLi25EEEEEEENST_IJLi23ELi25ELi24EEEElEENSB_INS5_IJSR_SP_SP_SR_SG_EEENS5_IJSU_SV_SW_SY_SX_EEENS5_IJNST_IJLi1ELi2EEEESX_SY_NST_IJLi5ELi6EEEES11_EEENST_IJLi5ELi7ELi6EEEElEENSB_INS5_IJSK_SP_SP_EEENS5_IJSU_SV_SW_EEENS5_IJS1P_SX_SY_EEENST_IJLi3ELi4EEEElEELi128ELi128ELi16ELi4ELi4ELi4ELi1ENST_IJLi8ELi2EEEES1Z_NST_IJLi8ELi1ELi1ELi4EEEENST_IJLi2ELi1ELi128ELi1EEEENST_IJLi1ELi2ELi0ELi3EEEES22_NST_IJLi4ELi1ELi1ELi4EEEES22_NST_IJLi1ELi1ELi1ELi4EEEES20_S21_S22_S22_S23_S22_S24_NST_IJLi0ELi1ELi2ELi3ELi4ELi5EEEELi5ELi4EEEaNS5_IJPKaEEEaS8_S8_S9_NSB_INS5_IJSE_SG_SI_SI_SI_SG_SG_SK_SK_SK_SG_SN_SN_SP_SP_SR_SG_SG_NSQ_INS5_IJiNS_17integral_constantIiLi128EEEEEELb0EEENSF_INS2A_IiLi4EEEEEEEENS5_IJSU_SV_SW_SX_SY_SZ_S10_S11_S12_S13_S14_S15_S16_S17_S18_S19_S1A_NST_IJLi23EEEES1J_NST_IJLi24EEEEEEENS5_IJS1C_S10_S11_S12_S13_S14_S1D_S1E_S1F_S1G_S1H_S17_S18_S1A_S19_S1I_S1J_NST_IJLi26EEEENST_IJLi27ELi28EEEENST_IJLi29EEEEEEENST_IJLi26ELi27ELi28ELi29EEEElEENSB_INS5_IJSR_SP_SP_SR_SG_SG_S2D_S2F_EEENS5_IJSU_SV_SW_SY_SX_SZ_S11_S10_EEENS5_IJS1P_SX_SY_S1Q_S11_S12_NST_IJLi9ELi10EEEES1D_EEENST_IJLi8ELi9ELi10ELi11EEEElEENS5_IJNSB_INS5_IJSK_SP_SP_NSQ_INS5_IJiNS2A_IiLi2EEENS2A_IiLi64EEEEEELb0EEES2Z_EEENS5_IJSU_SV_SW_SX_SY_EEENS5_IJS1P_SX_SY_NST_IJLi5ELi6ELi7EEEENST_IJLi8ELi9ELi10EEEEEEENST_IJLi5ELi6ELi7ELi8ELi9ELi10EEEElEEEEES36_NS_31BlockToCTileMap_M00_N00_M01_N01ILi128ELi128ES1Y_Lb0EEENS1_30ComputePtrOffsetOfStridedBatchILi1ELi1ELi1EvEELb0ELb0EEEvPKT0_S3E_T1_PT2_T3_T4_T5_iT6_T7_T8_T9_T10_T11_, .Lfunc_end13-_ZN2ck16tensor_operation6device12_GLOBAL__N_137kernel_grouped_conv_fwd_dl_multiple_dINS_32GridwiseGemmDlMultipleD_km_kn_mnILi256EaiNS_5TupleIJaEEEaNS0_12element_wise11PassThroughES8_NS7_7AddReluELNS_25InMemoryDataOperationEnumE0ENS_16TensorDescriptorINS5_IJNS_5EmbedINS5_IJiiiiiEEESD_Lb0EEENS_11PassThroughIiEENS_3PadIiiiLb0EEESI_SI_SG_SG_NSC_INS5_IJiiEEESJ_Lb0EEESK_SK_SG_NS_23Merge_v2_magic_divisionINS5_IJiiiiEEEEESN_NS_8RightPadIiiLb0EEESP_NS_7UnMergeISJ_Lb0EEESG_EEENS5_IJNS_8SequenceIJLi0EEEENST_IJLi1EEEENST_IJLi2EEEENST_IJLi3EEEENST_IJLi4EEEENST_IJLi5EEEENST_IJLi6EEEENST_IJLi7EEEENST_IJLi8EEEENST_IJLi9EEEENST_IJLi10EEEENST_IJLi11ELi13ELi15ELi17EEEENST_IJLi12ELi14ELi16ELi18EEEENST_IJLi19EEEENST_IJLi20EEEENST_IJLi22EEEENST_IJLi21EEEEEEENS5_IJNST_IJLi1ELi2ELi3ELi4ELi5EEEES10_S11_S12_S13_S14_NST_IJLi11EEEENST_IJLi12ELi13EEEENST_IJLi14ELi15EEEENST_IJLi16ELi17EEEENST_IJLi18EEEES17_S18_S1A_S19_NST_IJLi23ELi24EEEENST_IJLi25EEEEEEENST_IJLi23ELi25ELi24EEEElEENSB_INS5_IJSR_SP_SP_SR_SG_EEENS5_IJSU_SV_SW_SY_SX_EEENS5_IJNST_IJLi1ELi2EEEESX_SY_NST_IJLi5ELi6EEEES11_EEENST_IJLi5ELi7ELi6EEEElEENSB_INS5_IJSK_SP_SP_EEENS5_IJSU_SV_SW_EEENS5_IJS1P_SX_SY_EEENST_IJLi3ELi4EEEElEELi128ELi128ELi16ELi4ELi4ELi4ELi1ENST_IJLi8ELi2EEEES1Z_NST_IJLi8ELi1ELi1ELi4EEEENST_IJLi2ELi1ELi128ELi1EEEENST_IJLi1ELi2ELi0ELi3EEEES22_NST_IJLi4ELi1ELi1ELi4EEEES22_NST_IJLi1ELi1ELi1ELi4EEEES20_S21_S22_S22_S23_S22_S24_NST_IJLi0ELi1ELi2ELi3ELi4ELi5EEEELi5ELi4EEEaNS5_IJPKaEEEaS8_S8_S9_NSB_INS5_IJSE_SG_SI_SI_SI_SG_SG_SK_SK_SK_SG_SN_SN_SP_SP_SR_SG_SG_NSQ_INS5_IJiNS_17integral_constantIiLi128EEEEEELb0EEENSF_INS2A_IiLi4EEEEEEEENS5_IJSU_SV_SW_SX_SY_SZ_S10_S11_S12_S13_S14_S15_S16_S17_S18_S19_S1A_NST_IJLi23EEEES1J_NST_IJLi24EEEEEEENS5_IJS1C_S10_S11_S12_S13_S14_S1D_S1E_S1F_S1G_S1H_S17_S18_S1A_S19_S1I_S1J_NST_IJLi26EEEENST_IJLi27ELi28EEEENST_IJLi29EEEEEEENST_IJLi26ELi27ELi28ELi29EEEElEENSB_INS5_IJSR_SP_SP_SR_SG_SG_S2D_S2F_EEENS5_IJSU_SV_SW_SY_SX_SZ_S11_S10_EEENS5_IJS1P_SX_SY_S1Q_S11_S12_NST_IJLi9ELi10EEEES1D_EEENST_IJLi8ELi9ELi10ELi11EEEElEENS5_IJNSB_INS5_IJSK_SP_SP_NSQ_INS5_IJiNS2A_IiLi2EEENS2A_IiLi64EEEEEELb0EEES2Z_EEENS5_IJSU_SV_SW_SX_SY_EEENS5_IJS1P_SX_SY_NST_IJLi5ELi6ELi7EEEENST_IJLi8ELi9ELi10EEEEEEENST_IJLi5ELi6ELi7ELi8ELi9ELi10EEEElEEEEES36_NS_31BlockToCTileMap_M00_N00_M01_N01ILi128ELi128ES1Y_Lb0EEENS1_30ComputePtrOffsetOfStridedBatchILi1ELi1ELi1EvEELb0ELb0EEEvPKT0_S3E_T1_PT2_T3_T4_T5_iT6_T7_T8_T9_T10_T11_
                                        ; -- End function
	.section	.AMDGPU.csdata,"",@progbits
; Kernel info:
; codeLenInByte = 8908
; NumSgprs: 90
; NumVgprs: 60
; NumAgprs: 0
; TotalNumVgprs: 60
; ScratchSize: 448
; MemoryBound: 0
; FloatMode: 240
; IeeeMode: 1
; LDSByteSize: 32768 bytes/workgroup (compile time only)
; SGPRBlocks: 11
; VGPRBlocks: 7
; NumSGPRsForWavesPerEU: 90
; NumVGPRsForWavesPerEU: 60
; AccumOffset: 60
; Occupancy: 2
; WaveLimiterHint : 1
; COMPUTE_PGM_RSRC2:SCRATCH_EN: 1
; COMPUTE_PGM_RSRC2:USER_SGPR: 8
; COMPUTE_PGM_RSRC2:TRAP_HANDLER: 0
; COMPUTE_PGM_RSRC2:TGID_X_EN: 1
; COMPUTE_PGM_RSRC2:TGID_Y_EN: 0
; COMPUTE_PGM_RSRC2:TGID_Z_EN: 0
; COMPUTE_PGM_RSRC2:TIDIG_COMP_CNT: 0
; COMPUTE_PGM_RSRC3_GFX90A:ACCUM_OFFSET: 14
; COMPUTE_PGM_RSRC3_GFX90A:TG_SPLIT: 0
	.text
	.p2alignl 6, 3212836864
	.fill 256, 4, 3212836864
	.type	__hip_cuid_ba39a898f24e6dc8,@object ; @__hip_cuid_ba39a898f24e6dc8
	.section	.bss,"aw",@nobits
	.globl	__hip_cuid_ba39a898f24e6dc8
__hip_cuid_ba39a898f24e6dc8:
	.byte	0                               ; 0x0
	.size	__hip_cuid_ba39a898f24e6dc8, 1

	.ident	"AMD clang version 19.0.0git (https://github.com/RadeonOpenCompute/llvm-project roc-6.4.0 25133 c7fe45cf4b819c5991fe208aaa96edf142730f1d)"
	.section	".note.GNU-stack","",@progbits
	.addrsig
	.addrsig_sym __hip_cuid_ba39a898f24e6dc8
	.amdgpu_metadata
---
amdhsa.kernels:
  - .agpr_count:     0
    .args:           []
    .group_segment_fixed_size: 0
    .kernarg_segment_align: 4
    .kernarg_segment_size: 0
    .language:       OpenCL C
    .language_version:
      - 2
      - 0
    .max_flat_workgroup_size: 1024
    .name:           _ZN2ckL12flush_icacheEv
    .private_segment_fixed_size: 0
    .sgpr_count:     4
    .sgpr_spill_count: 0
    .symbol:         _ZN2ckL12flush_icacheEv.kd
    .uniform_work_group_size: 1
    .uses_dynamic_stack: false
    .vgpr_count:     0
    .vgpr_spill_count: 0
    .wavefront_size: 64
  - .agpr_count:     0
    .args:
      - .address_space:  global
        .offset:         0
        .size:           8
        .value_kind:     global_buffer
      - .address_space:  global
        .offset:         8
        .size:           8
        .value_kind:     global_buffer
      - .address_space:  global
        .offset:         16
        .size:           8
        .value_kind:     global_buffer
      - .address_space:  global
        .offset:         24
        .size:           8
        .value_kind:     global_buffer
      - .offset:         32
        .size:           1
        .value_kind:     by_value
      - .offset:         33
        .size:           1
        .value_kind:     by_value
      - .offset:         34
        .size:           1
        .value_kind:     by_value
      - .offset:         36
        .size:           4
        .value_kind:     by_value
      - .offset:         40
        .size:           200
        .value_kind:     by_value
      - .offset:         240
        .size:           96
        .value_kind:     by_value
      - .offset:         336
        .size:           80
        .value_kind:     by_value
      - .offset:         416
        .size:           80
        .value_kind:     by_value
      - .offset:         496
        .size:           112
        .value_kind:     by_value
      - .offset:         608
        .size:           40
        .value_kind:     by_value
      - .offset:         648
        .size:           4
        .value_kind:     hidden_block_count_x
      - .offset:         652
        .size:           4
        .value_kind:     hidden_block_count_y
      - .offset:         656
        .size:           4
        .value_kind:     hidden_block_count_z
      - .offset:         660
        .size:           2
        .value_kind:     hidden_group_size_x
      - .offset:         662
        .size:           2
        .value_kind:     hidden_group_size_y
      - .offset:         664
        .size:           2
        .value_kind:     hidden_group_size_z
      - .offset:         666
        .size:           2
        .value_kind:     hidden_remainder_x
      - .offset:         668
        .size:           2
        .value_kind:     hidden_remainder_y
      - .offset:         670
        .size:           2
        .value_kind:     hidden_remainder_z
      - .offset:         688
        .size:           8
        .value_kind:     hidden_global_offset_x
      - .offset:         696
        .size:           8
        .value_kind:     hidden_global_offset_y
      - .offset:         704
        .size:           8
        .value_kind:     hidden_global_offset_z
      - .offset:         712
        .size:           2
        .value_kind:     hidden_grid_dims
    .group_segment_fixed_size: 32768
    .kernarg_segment_align: 8
    .kernarg_segment_size: 904
    .language:       OpenCL C
    .language_version:
      - 2
      - 0
    .max_flat_workgroup_size: 256
    .name:           _ZN2ck16tensor_operation6device12_GLOBAL__N_137kernel_grouped_conv_fwd_dl_multiple_dINS_32GridwiseGemmDlMultipleD_km_kn_mnILi256EaiNS_5TupleIJaEEEaNS0_12element_wise11PassThroughES8_NS7_7AddReluELNS_25InMemoryDataOperationEnumE0ENS_16TensorDescriptorINS5_IJNS_5EmbedINS5_IJiiiEEESD_Lb0EEENS_11PassThroughIiEENS_3PadIiiiLb0EEESG_SG_NSC_INS5_IJiiEEESJ_Lb0EEESG_NS_23Merge_v2_magic_divisionISJ_EESM_NS_8RightPadIiiLb0EEESO_NS_7UnMergeISJ_Lb0EEESG_EEENS5_IJNS_8SequenceIJLi0EEEENSS_IJLi1EEEENSS_IJLi2EEEENSS_IJLi3EEEENSS_IJLi4EEEENSS_IJLi5EEEENSS_IJLi6EEEENSS_IJLi7ELi9EEEENSS_IJLi8ELi10EEEENSS_IJLi11EEEENSS_IJLi12EEEENSS_IJLi14EEEENSS_IJLi13EEEEEEENS5_IJNSS_IJLi1ELi2ELi3EEEESX_SY_SZ_NSS_IJLi7EEEENSS_IJLi8ELi9EEEENSS_IJLi10EEEES12_S13_S15_S14_NSS_IJLi15ELi16EEEENSS_IJLi17EEEEEEENSS_IJLi15ELi17ELi16EEEElEENSB_INS5_IJSQ_SO_SO_SQ_SG_EEENS5_IJST_SU_SV_SX_SW_EEENS5_IJNSS_IJLi1ELi2EEEESW_SX_NSS_IJLi5ELi6EEEES18_EEENSS_IJLi5ELi7ELi6EEEElEENSB_INS5_IJSK_SO_SO_EEENS5_IJST_SU_SV_EEENS5_IJS1I_SW_SX_EEENSS_IJLi3ELi4EEEElEELi128ELi128ELi16ELi4ELi4ELi4ELi1ENSS_IJLi8ELi2EEEES1S_NSS_IJLi8ELi1ELi1ELi4EEEENSS_IJLi2ELi1ELi128ELi1EEEENSS_IJLi1ELi2ELi0ELi3EEEES1V_NSS_IJLi4ELi1ELi1ELi4EEEES1V_NSS_IJLi1ELi1ELi1ELi4EEEES1T_S1U_S1V_S1V_S1W_S1V_S1X_NSS_IJLi0ELi1ELi2ELi3ELi4ELi5EEEELi5ELi4EEEaNS5_IJPKaEEEaS8_S8_S9_NSB_INS5_IJSE_SG_SI_SG_SG_SK_SG_SM_SM_SO_SO_SQ_SG_SG_NSP_INS5_IJiNS_17integral_constantIiLi128EEEEEELb0EEENSF_INS23_IiLi4EEEEEEEENS5_IJST_SU_SV_SW_SX_SY_SZ_S10_S11_S12_S13_S14_S15_NSS_IJLi15EEEES1C_NSS_IJLi16EEEEEEENS5_IJS17_SX_SY_SZ_S18_S19_S1A_S12_S13_S15_S14_S1B_S1C_NSS_IJLi18EEEENSS_IJLi19ELi20EEEENSS_IJLi21EEEEEEENSS_IJLi18ELi19ELi20ELi21EEEElEENSB_INS5_IJSQ_SO_SO_SQ_SG_SG_S26_S28_EEENS5_IJST_SU_SV_SX_SW_SY_S18_SZ_EEENS5_IJS1I_SW_SX_S1J_S18_NSS_IJLi8EEEENSS_IJLi9ELi10EEEES12_EEENSS_IJLi8ELi9ELi10ELi11EEEElEENS5_IJNSB_INS5_IJSK_SO_SO_NSP_INS5_IJiNS23_IiLi2EEENS23_IiLi64EEEEEELb0EEES2T_EEENS5_IJST_SU_SV_SW_SX_EEENS5_IJS1I_SW_SX_NSS_IJLi5ELi6ELi7EEEENSS_IJLi8ELi9ELi10EEEEEEENSS_IJLi5ELi6ELi7ELi8ELi9ELi10EEEElEEEEES30_NS_31BlockToCTileMap_M00_N00_M01_N01ILi128ELi128ES1R_Lb0EEENS1_30ComputePtrOffsetOfStridedBatchILi1ELi1ELi1EvEELb1ELb1EEEvPKT0_S38_T1_PT2_T3_T4_T5_iT6_T7_T8_T9_T10_T11_
    .private_segment_fixed_size: 480
    .sgpr_count:     100
    .sgpr_spill_count: 0
    .symbol:         _ZN2ck16tensor_operation6device12_GLOBAL__N_137kernel_grouped_conv_fwd_dl_multiple_dINS_32GridwiseGemmDlMultipleD_km_kn_mnILi256EaiNS_5TupleIJaEEEaNS0_12element_wise11PassThroughES8_NS7_7AddReluELNS_25InMemoryDataOperationEnumE0ENS_16TensorDescriptorINS5_IJNS_5EmbedINS5_IJiiiEEESD_Lb0EEENS_11PassThroughIiEENS_3PadIiiiLb0EEESG_SG_NSC_INS5_IJiiEEESJ_Lb0EEESG_NS_23Merge_v2_magic_divisionISJ_EESM_NS_8RightPadIiiLb0EEESO_NS_7UnMergeISJ_Lb0EEESG_EEENS5_IJNS_8SequenceIJLi0EEEENSS_IJLi1EEEENSS_IJLi2EEEENSS_IJLi3EEEENSS_IJLi4EEEENSS_IJLi5EEEENSS_IJLi6EEEENSS_IJLi7ELi9EEEENSS_IJLi8ELi10EEEENSS_IJLi11EEEENSS_IJLi12EEEENSS_IJLi14EEEENSS_IJLi13EEEEEEENS5_IJNSS_IJLi1ELi2ELi3EEEESX_SY_SZ_NSS_IJLi7EEEENSS_IJLi8ELi9EEEENSS_IJLi10EEEES12_S13_S15_S14_NSS_IJLi15ELi16EEEENSS_IJLi17EEEEEEENSS_IJLi15ELi17ELi16EEEElEENSB_INS5_IJSQ_SO_SO_SQ_SG_EEENS5_IJST_SU_SV_SX_SW_EEENS5_IJNSS_IJLi1ELi2EEEESW_SX_NSS_IJLi5ELi6EEEES18_EEENSS_IJLi5ELi7ELi6EEEElEENSB_INS5_IJSK_SO_SO_EEENS5_IJST_SU_SV_EEENS5_IJS1I_SW_SX_EEENSS_IJLi3ELi4EEEElEELi128ELi128ELi16ELi4ELi4ELi4ELi1ENSS_IJLi8ELi2EEEES1S_NSS_IJLi8ELi1ELi1ELi4EEEENSS_IJLi2ELi1ELi128ELi1EEEENSS_IJLi1ELi2ELi0ELi3EEEES1V_NSS_IJLi4ELi1ELi1ELi4EEEES1V_NSS_IJLi1ELi1ELi1ELi4EEEES1T_S1U_S1V_S1V_S1W_S1V_S1X_NSS_IJLi0ELi1ELi2ELi3ELi4ELi5EEEELi5ELi4EEEaNS5_IJPKaEEEaS8_S8_S9_NSB_INS5_IJSE_SG_SI_SG_SG_SK_SG_SM_SM_SO_SO_SQ_SG_SG_NSP_INS5_IJiNS_17integral_constantIiLi128EEEEEELb0EEENSF_INS23_IiLi4EEEEEEEENS5_IJST_SU_SV_SW_SX_SY_SZ_S10_S11_S12_S13_S14_S15_NSS_IJLi15EEEES1C_NSS_IJLi16EEEEEEENS5_IJS17_SX_SY_SZ_S18_S19_S1A_S12_S13_S15_S14_S1B_S1C_NSS_IJLi18EEEENSS_IJLi19ELi20EEEENSS_IJLi21EEEEEEENSS_IJLi18ELi19ELi20ELi21EEEElEENSB_INS5_IJSQ_SO_SO_SQ_SG_SG_S26_S28_EEENS5_IJST_SU_SV_SX_SW_SY_S18_SZ_EEENS5_IJS1I_SW_SX_S1J_S18_NSS_IJLi8EEEENSS_IJLi9ELi10EEEES12_EEENSS_IJLi8ELi9ELi10ELi11EEEElEENS5_IJNSB_INS5_IJSK_SO_SO_NSP_INS5_IJiNS23_IiLi2EEENS23_IiLi64EEEEEELb0EEES2T_EEENS5_IJST_SU_SV_SW_SX_EEENS5_IJS1I_SW_SX_NSS_IJLi5ELi6ELi7EEEENSS_IJLi8ELi9ELi10EEEEEEENSS_IJLi5ELi6ELi7ELi8ELi9ELi10EEEElEEEEES30_NS_31BlockToCTileMap_M00_N00_M01_N01ILi128ELi128ES1R_Lb0EEENS1_30ComputePtrOffsetOfStridedBatchILi1ELi1ELi1EvEELb1ELb1EEEvPKT0_S38_T1_PT2_T3_T4_T5_iT6_T7_T8_T9_T10_T11_.kd
    .uniform_work_group_size: 1
    .uses_dynamic_stack: false
    .vgpr_count:     108
    .vgpr_spill_count: 0
    .wavefront_size: 64
  - .agpr_count:     0
    .args:
      - .address_space:  global
        .offset:         0
        .size:           8
        .value_kind:     global_buffer
      - .address_space:  global
        .offset:         8
        .size:           8
        .value_kind:     global_buffer
      - .address_space:  global
        .offset:         16
        .size:           8
        .value_kind:     global_buffer
      - .address_space:  global
        .offset:         24
        .size:           8
        .value_kind:     global_buffer
      - .offset:         32
        .size:           1
        .value_kind:     by_value
      - .offset:         33
        .size:           1
        .value_kind:     by_value
      - .offset:         34
        .size:           1
        .value_kind:     by_value
      - .offset:         36
        .size:           4
        .value_kind:     by_value
      - .offset:         40
        .size:           200
        .value_kind:     by_value
      - .offset:         240
        .size:           96
        .value_kind:     by_value
      - .offset:         336
        .size:           80
        .value_kind:     by_value
      - .offset:         416
        .size:           80
        .value_kind:     by_value
      - .offset:         496
        .size:           112
        .value_kind:     by_value
      - .offset:         608
        .size:           40
        .value_kind:     by_value
      - .offset:         648
        .size:           4
        .value_kind:     hidden_block_count_x
      - .offset:         652
        .size:           4
        .value_kind:     hidden_block_count_y
      - .offset:         656
        .size:           4
        .value_kind:     hidden_block_count_z
      - .offset:         660
        .size:           2
        .value_kind:     hidden_group_size_x
      - .offset:         662
        .size:           2
        .value_kind:     hidden_group_size_y
      - .offset:         664
        .size:           2
        .value_kind:     hidden_group_size_z
      - .offset:         666
        .size:           2
        .value_kind:     hidden_remainder_x
      - .offset:         668
        .size:           2
        .value_kind:     hidden_remainder_y
      - .offset:         670
        .size:           2
        .value_kind:     hidden_remainder_z
      - .offset:         688
        .size:           8
        .value_kind:     hidden_global_offset_x
      - .offset:         696
        .size:           8
        .value_kind:     hidden_global_offset_y
      - .offset:         704
        .size:           8
        .value_kind:     hidden_global_offset_z
      - .offset:         712
        .size:           2
        .value_kind:     hidden_grid_dims
    .group_segment_fixed_size: 32768
    .kernarg_segment_align: 8
    .kernarg_segment_size: 904
    .language:       OpenCL C
    .language_version:
      - 2
      - 0
    .max_flat_workgroup_size: 256
    .name:           _ZN2ck16tensor_operation6device12_GLOBAL__N_137kernel_grouped_conv_fwd_dl_multiple_dINS_32GridwiseGemmDlMultipleD_km_kn_mnILi256EaiNS_5TupleIJaEEEaNS0_12element_wise11PassThroughES8_NS7_7AddReluELNS_25InMemoryDataOperationEnumE0ENS_16TensorDescriptorINS5_IJNS_5EmbedINS5_IJiiiEEESD_Lb0EEENS_11PassThroughIiEENS_3PadIiiiLb0EEESG_SG_NSC_INS5_IJiiEEESJ_Lb0EEESG_NS_23Merge_v2_magic_divisionISJ_EESM_NS_8RightPadIiiLb0EEESO_NS_7UnMergeISJ_Lb0EEESG_EEENS5_IJNS_8SequenceIJLi0EEEENSS_IJLi1EEEENSS_IJLi2EEEENSS_IJLi3EEEENSS_IJLi4EEEENSS_IJLi5EEEENSS_IJLi6EEEENSS_IJLi7ELi9EEEENSS_IJLi8ELi10EEEENSS_IJLi11EEEENSS_IJLi12EEEENSS_IJLi14EEEENSS_IJLi13EEEEEEENS5_IJNSS_IJLi1ELi2ELi3EEEESX_SY_SZ_NSS_IJLi7EEEENSS_IJLi8ELi9EEEENSS_IJLi10EEEES12_S13_S15_S14_NSS_IJLi15ELi16EEEENSS_IJLi17EEEEEEENSS_IJLi15ELi17ELi16EEEElEENSB_INS5_IJSQ_SO_SO_SQ_SG_EEENS5_IJST_SU_SV_SX_SW_EEENS5_IJNSS_IJLi1ELi2EEEESW_SX_NSS_IJLi5ELi6EEEES18_EEENSS_IJLi5ELi7ELi6EEEElEENSB_INS5_IJSK_SO_SO_EEENS5_IJST_SU_SV_EEENS5_IJS1I_SW_SX_EEENSS_IJLi3ELi4EEEElEELi128ELi128ELi16ELi4ELi4ELi4ELi1ENSS_IJLi8ELi2EEEES1S_NSS_IJLi8ELi1ELi1ELi4EEEENSS_IJLi2ELi1ELi128ELi1EEEENSS_IJLi1ELi2ELi0ELi3EEEES1V_NSS_IJLi4ELi1ELi1ELi4EEEES1V_NSS_IJLi1ELi1ELi1ELi4EEEES1T_S1U_S1V_S1V_S1W_S1V_S1X_NSS_IJLi0ELi1ELi2ELi3ELi4ELi5EEEELi5ELi4EEEaNS5_IJPKaEEEaS8_S8_S9_NSB_INS5_IJSE_SG_SI_SG_SG_SK_SG_SM_SM_SO_SO_SQ_SG_SG_NSP_INS5_IJiNS_17integral_constantIiLi128EEEEEELb0EEENSF_INS23_IiLi4EEEEEEEENS5_IJST_SU_SV_SW_SX_SY_SZ_S10_S11_S12_S13_S14_S15_NSS_IJLi15EEEES1C_NSS_IJLi16EEEEEEENS5_IJS17_SX_SY_SZ_S18_S19_S1A_S12_S13_S15_S14_S1B_S1C_NSS_IJLi18EEEENSS_IJLi19ELi20EEEENSS_IJLi21EEEEEEENSS_IJLi18ELi19ELi20ELi21EEEElEENSB_INS5_IJSQ_SO_SO_SQ_SG_SG_S26_S28_EEENS5_IJST_SU_SV_SX_SW_SY_S18_SZ_EEENS5_IJS1I_SW_SX_S1J_S18_NSS_IJLi8EEEENSS_IJLi9ELi10EEEES12_EEENSS_IJLi8ELi9ELi10ELi11EEEElEENS5_IJNSB_INS5_IJSK_SO_SO_NSP_INS5_IJiNS23_IiLi2EEENS23_IiLi64EEEEEELb0EEES2T_EEENS5_IJST_SU_SV_SW_SX_EEENS5_IJS1I_SW_SX_NSS_IJLi5ELi6ELi7EEEENSS_IJLi8ELi9ELi10EEEEEEENSS_IJLi5ELi6ELi7ELi8ELi9ELi10EEEElEEEEES30_NS_31BlockToCTileMap_M00_N00_M01_N01ILi128ELi128ES1R_Lb0EEENS1_30ComputePtrOffsetOfStridedBatchILi1ELi1ELi1EvEELb1ELb0EEEvPKT0_S38_T1_PT2_T3_T4_T5_iT6_T7_T8_T9_T10_T11_
    .private_segment_fixed_size: 480
    .sgpr_count:     96
    .sgpr_spill_count: 0
    .symbol:         _ZN2ck16tensor_operation6device12_GLOBAL__N_137kernel_grouped_conv_fwd_dl_multiple_dINS_32GridwiseGemmDlMultipleD_km_kn_mnILi256EaiNS_5TupleIJaEEEaNS0_12element_wise11PassThroughES8_NS7_7AddReluELNS_25InMemoryDataOperationEnumE0ENS_16TensorDescriptorINS5_IJNS_5EmbedINS5_IJiiiEEESD_Lb0EEENS_11PassThroughIiEENS_3PadIiiiLb0EEESG_SG_NSC_INS5_IJiiEEESJ_Lb0EEESG_NS_23Merge_v2_magic_divisionISJ_EESM_NS_8RightPadIiiLb0EEESO_NS_7UnMergeISJ_Lb0EEESG_EEENS5_IJNS_8SequenceIJLi0EEEENSS_IJLi1EEEENSS_IJLi2EEEENSS_IJLi3EEEENSS_IJLi4EEEENSS_IJLi5EEEENSS_IJLi6EEEENSS_IJLi7ELi9EEEENSS_IJLi8ELi10EEEENSS_IJLi11EEEENSS_IJLi12EEEENSS_IJLi14EEEENSS_IJLi13EEEEEEENS5_IJNSS_IJLi1ELi2ELi3EEEESX_SY_SZ_NSS_IJLi7EEEENSS_IJLi8ELi9EEEENSS_IJLi10EEEES12_S13_S15_S14_NSS_IJLi15ELi16EEEENSS_IJLi17EEEEEEENSS_IJLi15ELi17ELi16EEEElEENSB_INS5_IJSQ_SO_SO_SQ_SG_EEENS5_IJST_SU_SV_SX_SW_EEENS5_IJNSS_IJLi1ELi2EEEESW_SX_NSS_IJLi5ELi6EEEES18_EEENSS_IJLi5ELi7ELi6EEEElEENSB_INS5_IJSK_SO_SO_EEENS5_IJST_SU_SV_EEENS5_IJS1I_SW_SX_EEENSS_IJLi3ELi4EEEElEELi128ELi128ELi16ELi4ELi4ELi4ELi1ENSS_IJLi8ELi2EEEES1S_NSS_IJLi8ELi1ELi1ELi4EEEENSS_IJLi2ELi1ELi128ELi1EEEENSS_IJLi1ELi2ELi0ELi3EEEES1V_NSS_IJLi4ELi1ELi1ELi4EEEES1V_NSS_IJLi1ELi1ELi1ELi4EEEES1T_S1U_S1V_S1V_S1W_S1V_S1X_NSS_IJLi0ELi1ELi2ELi3ELi4ELi5EEEELi5ELi4EEEaNS5_IJPKaEEEaS8_S8_S9_NSB_INS5_IJSE_SG_SI_SG_SG_SK_SG_SM_SM_SO_SO_SQ_SG_SG_NSP_INS5_IJiNS_17integral_constantIiLi128EEEEEELb0EEENSF_INS23_IiLi4EEEEEEEENS5_IJST_SU_SV_SW_SX_SY_SZ_S10_S11_S12_S13_S14_S15_NSS_IJLi15EEEES1C_NSS_IJLi16EEEEEEENS5_IJS17_SX_SY_SZ_S18_S19_S1A_S12_S13_S15_S14_S1B_S1C_NSS_IJLi18EEEENSS_IJLi19ELi20EEEENSS_IJLi21EEEEEEENSS_IJLi18ELi19ELi20ELi21EEEElEENSB_INS5_IJSQ_SO_SO_SQ_SG_SG_S26_S28_EEENS5_IJST_SU_SV_SX_SW_SY_S18_SZ_EEENS5_IJS1I_SW_SX_S1J_S18_NSS_IJLi8EEEENSS_IJLi9ELi10EEEES12_EEENSS_IJLi8ELi9ELi10ELi11EEEElEENS5_IJNSB_INS5_IJSK_SO_SO_NSP_INS5_IJiNS23_IiLi2EEENS23_IiLi64EEEEEELb0EEES2T_EEENS5_IJST_SU_SV_SW_SX_EEENS5_IJS1I_SW_SX_NSS_IJLi5ELi6ELi7EEEENSS_IJLi8ELi9ELi10EEEEEEENSS_IJLi5ELi6ELi7ELi8ELi9ELi10EEEElEEEEES30_NS_31BlockToCTileMap_M00_N00_M01_N01ILi128ELi128ES1R_Lb0EEENS1_30ComputePtrOffsetOfStridedBatchILi1ELi1ELi1EvEELb1ELb0EEEvPKT0_S38_T1_PT2_T3_T4_T5_iT6_T7_T8_T9_T10_T11_.kd
    .uniform_work_group_size: 1
    .uses_dynamic_stack: false
    .vgpr_count:     106
    .vgpr_spill_count: 0
    .wavefront_size: 64
  - .agpr_count:     0
    .args:
      - .address_space:  global
        .offset:         0
        .size:           8
        .value_kind:     global_buffer
      - .address_space:  global
        .offset:         8
        .size:           8
        .value_kind:     global_buffer
      - .address_space:  global
        .offset:         16
        .size:           8
        .value_kind:     global_buffer
      - .address_space:  global
        .offset:         24
        .size:           8
        .value_kind:     global_buffer
      - .offset:         32
        .size:           1
        .value_kind:     by_value
      - .offset:         33
        .size:           1
        .value_kind:     by_value
      - .offset:         34
        .size:           1
        .value_kind:     by_value
      - .offset:         36
        .size:           4
        .value_kind:     by_value
      - .offset:         40
        .size:           200
        .value_kind:     by_value
      - .offset:         240
        .size:           96
        .value_kind:     by_value
      - .offset:         336
        .size:           80
        .value_kind:     by_value
      - .offset:         416
        .size:           80
        .value_kind:     by_value
      - .offset:         496
        .size:           112
        .value_kind:     by_value
      - .offset:         608
        .size:           40
        .value_kind:     by_value
      - .offset:         648
        .size:           4
        .value_kind:     hidden_block_count_x
      - .offset:         652
        .size:           4
        .value_kind:     hidden_block_count_y
      - .offset:         656
        .size:           4
        .value_kind:     hidden_block_count_z
      - .offset:         660
        .size:           2
        .value_kind:     hidden_group_size_x
      - .offset:         662
        .size:           2
        .value_kind:     hidden_group_size_y
      - .offset:         664
        .size:           2
        .value_kind:     hidden_group_size_z
      - .offset:         666
        .size:           2
        .value_kind:     hidden_remainder_x
      - .offset:         668
        .size:           2
        .value_kind:     hidden_remainder_y
      - .offset:         670
        .size:           2
        .value_kind:     hidden_remainder_z
      - .offset:         688
        .size:           8
        .value_kind:     hidden_global_offset_x
      - .offset:         696
        .size:           8
        .value_kind:     hidden_global_offset_y
      - .offset:         704
        .size:           8
        .value_kind:     hidden_global_offset_z
      - .offset:         712
        .size:           2
        .value_kind:     hidden_grid_dims
    .group_segment_fixed_size: 32768
    .kernarg_segment_align: 8
    .kernarg_segment_size: 904
    .language:       OpenCL C
    .language_version:
      - 2
      - 0
    .max_flat_workgroup_size: 256
    .name:           _ZN2ck16tensor_operation6device12_GLOBAL__N_137kernel_grouped_conv_fwd_dl_multiple_dINS_32GridwiseGemmDlMultipleD_km_kn_mnILi256EaiNS_5TupleIJaEEEaNS0_12element_wise11PassThroughES8_NS7_7AddReluELNS_25InMemoryDataOperationEnumE0ENS_16TensorDescriptorINS5_IJNS_5EmbedINS5_IJiiiEEESD_Lb0EEENS_11PassThroughIiEENS_3PadIiiiLb0EEESG_SG_NSC_INS5_IJiiEEESJ_Lb0EEESG_NS_23Merge_v2_magic_divisionISJ_EESM_NS_8RightPadIiiLb0EEESO_NS_7UnMergeISJ_Lb0EEESG_EEENS5_IJNS_8SequenceIJLi0EEEENSS_IJLi1EEEENSS_IJLi2EEEENSS_IJLi3EEEENSS_IJLi4EEEENSS_IJLi5EEEENSS_IJLi6EEEENSS_IJLi7ELi9EEEENSS_IJLi8ELi10EEEENSS_IJLi11EEEENSS_IJLi12EEEENSS_IJLi14EEEENSS_IJLi13EEEEEEENS5_IJNSS_IJLi1ELi2ELi3EEEESX_SY_SZ_NSS_IJLi7EEEENSS_IJLi8ELi9EEEENSS_IJLi10EEEES12_S13_S15_S14_NSS_IJLi15ELi16EEEENSS_IJLi17EEEEEEENSS_IJLi15ELi17ELi16EEEElEENSB_INS5_IJSQ_SO_SO_SQ_SG_EEENS5_IJST_SU_SV_SX_SW_EEENS5_IJNSS_IJLi1ELi2EEEESW_SX_NSS_IJLi5ELi6EEEES18_EEENSS_IJLi5ELi7ELi6EEEElEENSB_INS5_IJSK_SO_SO_EEENS5_IJST_SU_SV_EEENS5_IJS1I_SW_SX_EEENSS_IJLi3ELi4EEEElEELi128ELi128ELi16ELi4ELi4ELi4ELi1ENSS_IJLi8ELi2EEEES1S_NSS_IJLi8ELi1ELi1ELi4EEEENSS_IJLi2ELi1ELi128ELi1EEEENSS_IJLi1ELi2ELi0ELi3EEEES1V_NSS_IJLi4ELi1ELi1ELi4EEEES1V_NSS_IJLi1ELi1ELi1ELi4EEEES1T_S1U_S1V_S1V_S1W_S1V_S1X_NSS_IJLi0ELi1ELi2ELi3ELi4ELi5EEEELi5ELi4EEEaNS5_IJPKaEEEaS8_S8_S9_NSB_INS5_IJSE_SG_SI_SG_SG_SK_SG_SM_SM_SO_SO_SQ_SG_SG_NSP_INS5_IJiNS_17integral_constantIiLi128EEEEEELb0EEENSF_INS23_IiLi4EEEEEEEENS5_IJST_SU_SV_SW_SX_SY_SZ_S10_S11_S12_S13_S14_S15_NSS_IJLi15EEEES1C_NSS_IJLi16EEEEEEENS5_IJS17_SX_SY_SZ_S18_S19_S1A_S12_S13_S15_S14_S1B_S1C_NSS_IJLi18EEEENSS_IJLi19ELi20EEEENSS_IJLi21EEEEEEENSS_IJLi18ELi19ELi20ELi21EEEElEENSB_INS5_IJSQ_SO_SO_SQ_SG_SG_S26_S28_EEENS5_IJST_SU_SV_SX_SW_SY_S18_SZ_EEENS5_IJS1I_SW_SX_S1J_S18_NSS_IJLi8EEEENSS_IJLi9ELi10EEEES12_EEENSS_IJLi8ELi9ELi10ELi11EEEElEENS5_IJNSB_INS5_IJSK_SO_SO_NSP_INS5_IJiNS23_IiLi2EEENS23_IiLi64EEEEEELb0EEES2T_EEENS5_IJST_SU_SV_SW_SX_EEENS5_IJS1I_SW_SX_NSS_IJLi5ELi6ELi7EEEENSS_IJLi8ELi9ELi10EEEEEEENSS_IJLi5ELi6ELi7ELi8ELi9ELi10EEEElEEEEES30_NS_31BlockToCTileMap_M00_N00_M01_N01ILi128ELi128ES1R_Lb0EEENS1_30ComputePtrOffsetOfStridedBatchILi1ELi1ELi1EvEELb0ELb1EEEvPKT0_S38_T1_PT2_T3_T4_T5_iT6_T7_T8_T9_T10_T11_
    .private_segment_fixed_size: 480
    .sgpr_count:     72
    .sgpr_spill_count: 0
    .symbol:         _ZN2ck16tensor_operation6device12_GLOBAL__N_137kernel_grouped_conv_fwd_dl_multiple_dINS_32GridwiseGemmDlMultipleD_km_kn_mnILi256EaiNS_5TupleIJaEEEaNS0_12element_wise11PassThroughES8_NS7_7AddReluELNS_25InMemoryDataOperationEnumE0ENS_16TensorDescriptorINS5_IJNS_5EmbedINS5_IJiiiEEESD_Lb0EEENS_11PassThroughIiEENS_3PadIiiiLb0EEESG_SG_NSC_INS5_IJiiEEESJ_Lb0EEESG_NS_23Merge_v2_magic_divisionISJ_EESM_NS_8RightPadIiiLb0EEESO_NS_7UnMergeISJ_Lb0EEESG_EEENS5_IJNS_8SequenceIJLi0EEEENSS_IJLi1EEEENSS_IJLi2EEEENSS_IJLi3EEEENSS_IJLi4EEEENSS_IJLi5EEEENSS_IJLi6EEEENSS_IJLi7ELi9EEEENSS_IJLi8ELi10EEEENSS_IJLi11EEEENSS_IJLi12EEEENSS_IJLi14EEEENSS_IJLi13EEEEEEENS5_IJNSS_IJLi1ELi2ELi3EEEESX_SY_SZ_NSS_IJLi7EEEENSS_IJLi8ELi9EEEENSS_IJLi10EEEES12_S13_S15_S14_NSS_IJLi15ELi16EEEENSS_IJLi17EEEEEEENSS_IJLi15ELi17ELi16EEEElEENSB_INS5_IJSQ_SO_SO_SQ_SG_EEENS5_IJST_SU_SV_SX_SW_EEENS5_IJNSS_IJLi1ELi2EEEESW_SX_NSS_IJLi5ELi6EEEES18_EEENSS_IJLi5ELi7ELi6EEEElEENSB_INS5_IJSK_SO_SO_EEENS5_IJST_SU_SV_EEENS5_IJS1I_SW_SX_EEENSS_IJLi3ELi4EEEElEELi128ELi128ELi16ELi4ELi4ELi4ELi1ENSS_IJLi8ELi2EEEES1S_NSS_IJLi8ELi1ELi1ELi4EEEENSS_IJLi2ELi1ELi128ELi1EEEENSS_IJLi1ELi2ELi0ELi3EEEES1V_NSS_IJLi4ELi1ELi1ELi4EEEES1V_NSS_IJLi1ELi1ELi1ELi4EEEES1T_S1U_S1V_S1V_S1W_S1V_S1X_NSS_IJLi0ELi1ELi2ELi3ELi4ELi5EEEELi5ELi4EEEaNS5_IJPKaEEEaS8_S8_S9_NSB_INS5_IJSE_SG_SI_SG_SG_SK_SG_SM_SM_SO_SO_SQ_SG_SG_NSP_INS5_IJiNS_17integral_constantIiLi128EEEEEELb0EEENSF_INS23_IiLi4EEEEEEEENS5_IJST_SU_SV_SW_SX_SY_SZ_S10_S11_S12_S13_S14_S15_NSS_IJLi15EEEES1C_NSS_IJLi16EEEEEEENS5_IJS17_SX_SY_SZ_S18_S19_S1A_S12_S13_S15_S14_S1B_S1C_NSS_IJLi18EEEENSS_IJLi19ELi20EEEENSS_IJLi21EEEEEEENSS_IJLi18ELi19ELi20ELi21EEEElEENSB_INS5_IJSQ_SO_SO_SQ_SG_SG_S26_S28_EEENS5_IJST_SU_SV_SX_SW_SY_S18_SZ_EEENS5_IJS1I_SW_SX_S1J_S18_NSS_IJLi8EEEENSS_IJLi9ELi10EEEES12_EEENSS_IJLi8ELi9ELi10ELi11EEEElEENS5_IJNSB_INS5_IJSK_SO_SO_NSP_INS5_IJiNS23_IiLi2EEENS23_IiLi64EEEEEELb0EEES2T_EEENS5_IJST_SU_SV_SW_SX_EEENS5_IJS1I_SW_SX_NSS_IJLi5ELi6ELi7EEEENSS_IJLi8ELi9ELi10EEEEEEENSS_IJLi5ELi6ELi7ELi8ELi9ELi10EEEElEEEEES30_NS_31BlockToCTileMap_M00_N00_M01_N01ILi128ELi128ES1R_Lb0EEENS1_30ComputePtrOffsetOfStridedBatchILi1ELi1ELi1EvEELb0ELb1EEEvPKT0_S38_T1_PT2_T3_T4_T5_iT6_T7_T8_T9_T10_T11_.kd
    .uniform_work_group_size: 1
    .uses_dynamic_stack: false
    .vgpr_count:     74
    .vgpr_spill_count: 0
    .wavefront_size: 64
  - .agpr_count:     0
    .args:
      - .address_space:  global
        .offset:         0
        .size:           8
        .value_kind:     global_buffer
      - .address_space:  global
        .offset:         8
        .size:           8
        .value_kind:     global_buffer
      - .address_space:  global
        .offset:         16
        .size:           8
        .value_kind:     global_buffer
      - .address_space:  global
        .offset:         24
        .size:           8
        .value_kind:     global_buffer
      - .offset:         32
        .size:           1
        .value_kind:     by_value
      - .offset:         33
        .size:           1
        .value_kind:     by_value
      - .offset:         34
        .size:           1
        .value_kind:     by_value
      - .offset:         36
        .size:           4
        .value_kind:     by_value
      - .offset:         40
        .size:           200
        .value_kind:     by_value
      - .offset:         240
        .size:           96
        .value_kind:     by_value
      - .offset:         336
        .size:           80
        .value_kind:     by_value
      - .offset:         416
        .size:           80
        .value_kind:     by_value
      - .offset:         496
        .size:           112
        .value_kind:     by_value
      - .offset:         608
        .size:           40
        .value_kind:     by_value
      - .offset:         648
        .size:           4
        .value_kind:     hidden_block_count_x
      - .offset:         652
        .size:           4
        .value_kind:     hidden_block_count_y
      - .offset:         656
        .size:           4
        .value_kind:     hidden_block_count_z
      - .offset:         660
        .size:           2
        .value_kind:     hidden_group_size_x
      - .offset:         662
        .size:           2
        .value_kind:     hidden_group_size_y
      - .offset:         664
        .size:           2
        .value_kind:     hidden_group_size_z
      - .offset:         666
        .size:           2
        .value_kind:     hidden_remainder_x
      - .offset:         668
        .size:           2
        .value_kind:     hidden_remainder_y
      - .offset:         670
        .size:           2
        .value_kind:     hidden_remainder_z
      - .offset:         688
        .size:           8
        .value_kind:     hidden_global_offset_x
      - .offset:         696
        .size:           8
        .value_kind:     hidden_global_offset_y
      - .offset:         704
        .size:           8
        .value_kind:     hidden_global_offset_z
      - .offset:         712
        .size:           2
        .value_kind:     hidden_grid_dims
    .group_segment_fixed_size: 32768
    .kernarg_segment_align: 8
    .kernarg_segment_size: 904
    .language:       OpenCL C
    .language_version:
      - 2
      - 0
    .max_flat_workgroup_size: 256
    .name:           _ZN2ck16tensor_operation6device12_GLOBAL__N_137kernel_grouped_conv_fwd_dl_multiple_dINS_32GridwiseGemmDlMultipleD_km_kn_mnILi256EaiNS_5TupleIJaEEEaNS0_12element_wise11PassThroughES8_NS7_7AddReluELNS_25InMemoryDataOperationEnumE0ENS_16TensorDescriptorINS5_IJNS_5EmbedINS5_IJiiiEEESD_Lb0EEENS_11PassThroughIiEENS_3PadIiiiLb0EEESG_SG_NSC_INS5_IJiiEEESJ_Lb0EEESG_NS_23Merge_v2_magic_divisionISJ_EESM_NS_8RightPadIiiLb0EEESO_NS_7UnMergeISJ_Lb0EEESG_EEENS5_IJNS_8SequenceIJLi0EEEENSS_IJLi1EEEENSS_IJLi2EEEENSS_IJLi3EEEENSS_IJLi4EEEENSS_IJLi5EEEENSS_IJLi6EEEENSS_IJLi7ELi9EEEENSS_IJLi8ELi10EEEENSS_IJLi11EEEENSS_IJLi12EEEENSS_IJLi14EEEENSS_IJLi13EEEEEEENS5_IJNSS_IJLi1ELi2ELi3EEEESX_SY_SZ_NSS_IJLi7EEEENSS_IJLi8ELi9EEEENSS_IJLi10EEEES12_S13_S15_S14_NSS_IJLi15ELi16EEEENSS_IJLi17EEEEEEENSS_IJLi15ELi17ELi16EEEElEENSB_INS5_IJSQ_SO_SO_SQ_SG_EEENS5_IJST_SU_SV_SX_SW_EEENS5_IJNSS_IJLi1ELi2EEEESW_SX_NSS_IJLi5ELi6EEEES18_EEENSS_IJLi5ELi7ELi6EEEElEENSB_INS5_IJSK_SO_SO_EEENS5_IJST_SU_SV_EEENS5_IJS1I_SW_SX_EEENSS_IJLi3ELi4EEEElEELi128ELi128ELi16ELi4ELi4ELi4ELi1ENSS_IJLi8ELi2EEEES1S_NSS_IJLi8ELi1ELi1ELi4EEEENSS_IJLi2ELi1ELi128ELi1EEEENSS_IJLi1ELi2ELi0ELi3EEEES1V_NSS_IJLi4ELi1ELi1ELi4EEEES1V_NSS_IJLi1ELi1ELi1ELi4EEEES1T_S1U_S1V_S1V_S1W_S1V_S1X_NSS_IJLi0ELi1ELi2ELi3ELi4ELi5EEEELi5ELi4EEEaNS5_IJPKaEEEaS8_S8_S9_NSB_INS5_IJSE_SG_SI_SG_SG_SK_SG_SM_SM_SO_SO_SQ_SG_SG_NSP_INS5_IJiNS_17integral_constantIiLi128EEEEEELb0EEENSF_INS23_IiLi4EEEEEEEENS5_IJST_SU_SV_SW_SX_SY_SZ_S10_S11_S12_S13_S14_S15_NSS_IJLi15EEEES1C_NSS_IJLi16EEEEEEENS5_IJS17_SX_SY_SZ_S18_S19_S1A_S12_S13_S15_S14_S1B_S1C_NSS_IJLi18EEEENSS_IJLi19ELi20EEEENSS_IJLi21EEEEEEENSS_IJLi18ELi19ELi20ELi21EEEElEENSB_INS5_IJSQ_SO_SO_SQ_SG_SG_S26_S28_EEENS5_IJST_SU_SV_SX_SW_SY_S18_SZ_EEENS5_IJS1I_SW_SX_S1J_S18_NSS_IJLi8EEEENSS_IJLi9ELi10EEEES12_EEENSS_IJLi8ELi9ELi10ELi11EEEElEENS5_IJNSB_INS5_IJSK_SO_SO_NSP_INS5_IJiNS23_IiLi2EEENS23_IiLi64EEEEEELb0EEES2T_EEENS5_IJST_SU_SV_SW_SX_EEENS5_IJS1I_SW_SX_NSS_IJLi5ELi6ELi7EEEENSS_IJLi8ELi9ELi10EEEEEEENSS_IJLi5ELi6ELi7ELi8ELi9ELi10EEEElEEEEES30_NS_31BlockToCTileMap_M00_N00_M01_N01ILi128ELi128ES1R_Lb0EEENS1_30ComputePtrOffsetOfStridedBatchILi1ELi1ELi1EvEELb0ELb0EEEvPKT0_S38_T1_PT2_T3_T4_T5_iT6_T7_T8_T9_T10_T11_
    .private_segment_fixed_size: 448
    .sgpr_count:     72
    .sgpr_spill_count: 0
    .symbol:         _ZN2ck16tensor_operation6device12_GLOBAL__N_137kernel_grouped_conv_fwd_dl_multiple_dINS_32GridwiseGemmDlMultipleD_km_kn_mnILi256EaiNS_5TupleIJaEEEaNS0_12element_wise11PassThroughES8_NS7_7AddReluELNS_25InMemoryDataOperationEnumE0ENS_16TensorDescriptorINS5_IJNS_5EmbedINS5_IJiiiEEESD_Lb0EEENS_11PassThroughIiEENS_3PadIiiiLb0EEESG_SG_NSC_INS5_IJiiEEESJ_Lb0EEESG_NS_23Merge_v2_magic_divisionISJ_EESM_NS_8RightPadIiiLb0EEESO_NS_7UnMergeISJ_Lb0EEESG_EEENS5_IJNS_8SequenceIJLi0EEEENSS_IJLi1EEEENSS_IJLi2EEEENSS_IJLi3EEEENSS_IJLi4EEEENSS_IJLi5EEEENSS_IJLi6EEEENSS_IJLi7ELi9EEEENSS_IJLi8ELi10EEEENSS_IJLi11EEEENSS_IJLi12EEEENSS_IJLi14EEEENSS_IJLi13EEEEEEENS5_IJNSS_IJLi1ELi2ELi3EEEESX_SY_SZ_NSS_IJLi7EEEENSS_IJLi8ELi9EEEENSS_IJLi10EEEES12_S13_S15_S14_NSS_IJLi15ELi16EEEENSS_IJLi17EEEEEEENSS_IJLi15ELi17ELi16EEEElEENSB_INS5_IJSQ_SO_SO_SQ_SG_EEENS5_IJST_SU_SV_SX_SW_EEENS5_IJNSS_IJLi1ELi2EEEESW_SX_NSS_IJLi5ELi6EEEES18_EEENSS_IJLi5ELi7ELi6EEEElEENSB_INS5_IJSK_SO_SO_EEENS5_IJST_SU_SV_EEENS5_IJS1I_SW_SX_EEENSS_IJLi3ELi4EEEElEELi128ELi128ELi16ELi4ELi4ELi4ELi1ENSS_IJLi8ELi2EEEES1S_NSS_IJLi8ELi1ELi1ELi4EEEENSS_IJLi2ELi1ELi128ELi1EEEENSS_IJLi1ELi2ELi0ELi3EEEES1V_NSS_IJLi4ELi1ELi1ELi4EEEES1V_NSS_IJLi1ELi1ELi1ELi4EEEES1T_S1U_S1V_S1V_S1W_S1V_S1X_NSS_IJLi0ELi1ELi2ELi3ELi4ELi5EEEELi5ELi4EEEaNS5_IJPKaEEEaS8_S8_S9_NSB_INS5_IJSE_SG_SI_SG_SG_SK_SG_SM_SM_SO_SO_SQ_SG_SG_NSP_INS5_IJiNS_17integral_constantIiLi128EEEEEELb0EEENSF_INS23_IiLi4EEEEEEEENS5_IJST_SU_SV_SW_SX_SY_SZ_S10_S11_S12_S13_S14_S15_NSS_IJLi15EEEES1C_NSS_IJLi16EEEEEEENS5_IJS17_SX_SY_SZ_S18_S19_S1A_S12_S13_S15_S14_S1B_S1C_NSS_IJLi18EEEENSS_IJLi19ELi20EEEENSS_IJLi21EEEEEEENSS_IJLi18ELi19ELi20ELi21EEEElEENSB_INS5_IJSQ_SO_SO_SQ_SG_SG_S26_S28_EEENS5_IJST_SU_SV_SX_SW_SY_S18_SZ_EEENS5_IJS1I_SW_SX_S1J_S18_NSS_IJLi8EEEENSS_IJLi9ELi10EEEES12_EEENSS_IJLi8ELi9ELi10ELi11EEEElEENS5_IJNSB_INS5_IJSK_SO_SO_NSP_INS5_IJiNS23_IiLi2EEENS23_IiLi64EEEEEELb0EEES2T_EEENS5_IJST_SU_SV_SW_SX_EEENS5_IJS1I_SW_SX_NSS_IJLi5ELi6ELi7EEEENSS_IJLi8ELi9ELi10EEEEEEENSS_IJLi5ELi6ELi7ELi8ELi9ELi10EEEElEEEEES30_NS_31BlockToCTileMap_M00_N00_M01_N01ILi128ELi128ES1R_Lb0EEENS1_30ComputePtrOffsetOfStridedBatchILi1ELi1ELi1EvEELb0ELb0EEEvPKT0_S38_T1_PT2_T3_T4_T5_iT6_T7_T8_T9_T10_T11_.kd
    .uniform_work_group_size: 1
    .uses_dynamic_stack: false
    .vgpr_count:     60
    .vgpr_spill_count: 0
    .wavefront_size: 64
  - .agpr_count:     0
    .args:
      - .address_space:  global
        .offset:         0
        .size:           8
        .value_kind:     global_buffer
      - .address_space:  global
        .offset:         8
        .size:           8
        .value_kind:     global_buffer
      - .address_space:  global
        .offset:         16
        .size:           8
        .value_kind:     global_buffer
      - .address_space:  global
        .offset:         24
        .size:           8
        .value_kind:     global_buffer
      - .offset:         32
        .size:           1
        .value_kind:     by_value
      - .offset:         33
        .size:           1
        .value_kind:     by_value
      - .offset:         34
        .size:           1
        .value_kind:     by_value
      - .offset:         36
        .size:           4
        .value_kind:     by_value
      - .offset:         40
        .size:           264
        .value_kind:     by_value
      - .offset:         304
        .size:           96
        .value_kind:     by_value
      - .offset:         400
        .size:           80
        .value_kind:     by_value
      - .offset:         480
        .size:           80
        .value_kind:     by_value
      - .offset:         560
        .size:           112
        .value_kind:     by_value
      - .offset:         672
        .size:           40
        .value_kind:     by_value
      - .offset:         712
        .size:           4
        .value_kind:     hidden_block_count_x
      - .offset:         716
        .size:           4
        .value_kind:     hidden_block_count_y
      - .offset:         720
        .size:           4
        .value_kind:     hidden_block_count_z
      - .offset:         724
        .size:           2
        .value_kind:     hidden_group_size_x
      - .offset:         726
        .size:           2
        .value_kind:     hidden_group_size_y
      - .offset:         728
        .size:           2
        .value_kind:     hidden_group_size_z
      - .offset:         730
        .size:           2
        .value_kind:     hidden_remainder_x
      - .offset:         732
        .size:           2
        .value_kind:     hidden_remainder_y
      - .offset:         734
        .size:           2
        .value_kind:     hidden_remainder_z
      - .offset:         752
        .size:           8
        .value_kind:     hidden_global_offset_x
      - .offset:         760
        .size:           8
        .value_kind:     hidden_global_offset_y
      - .offset:         768
        .size:           8
        .value_kind:     hidden_global_offset_z
      - .offset:         776
        .size:           2
        .value_kind:     hidden_grid_dims
    .group_segment_fixed_size: 32768
    .kernarg_segment_align: 8
    .kernarg_segment_size: 968
    .language:       OpenCL C
    .language_version:
      - 2
      - 0
    .max_flat_workgroup_size: 256
    .name:           _ZN2ck16tensor_operation6device12_GLOBAL__N_137kernel_grouped_conv_fwd_dl_multiple_dINS_32GridwiseGemmDlMultipleD_km_kn_mnILi256EaiNS_5TupleIJaEEEaNS0_12element_wise11PassThroughES8_NS7_7AddReluELNS_25InMemoryDataOperationEnumE0ENS_16TensorDescriptorINS5_IJNS_5EmbedINS5_IJiiiiEEESD_Lb0EEENS_11PassThroughIiEENS_3PadIiiiLb0EEESI_SG_SG_NSC_INS5_IJiiEEESJ_Lb0EEESK_SG_NS_23Merge_v2_magic_divisionINS5_IJiiiEEEEESN_NS_8RightPadIiiLb0EEESP_NS_7UnMergeISJ_Lb0EEESG_EEENS5_IJNS_8SequenceIJLi0EEEENST_IJLi1EEEENST_IJLi2EEEENST_IJLi3EEEENST_IJLi4EEEENST_IJLi5EEEENST_IJLi6EEEENST_IJLi7EEEENST_IJLi8EEEENST_IJLi9ELi11ELi13EEEENST_IJLi10ELi12ELi14EEEENST_IJLi15EEEENST_IJLi16EEEENST_IJLi18EEEENST_IJLi17EEEEEEENS5_IJNST_IJLi1ELi2ELi3ELi4EEEESZ_S10_S11_S12_NST_IJLi9EEEENST_IJLi10ELi11EEEENST_IJLi12ELi13EEEENST_IJLi14EEEES15_S16_S18_S17_NST_IJLi19ELi20EEEENST_IJLi21EEEEEEENST_IJLi19ELi21ELi20EEEElEENSB_INS5_IJSR_SP_SP_SR_SG_EEENS5_IJSU_SV_SW_SY_SX_EEENS5_IJNST_IJLi1ELi2EEEESX_SY_NST_IJLi5ELi6EEEES11_EEENST_IJLi5ELi7ELi6EEEElEENSB_INS5_IJSK_SP_SP_EEENS5_IJSU_SV_SW_EEENS5_IJS1M_SX_SY_EEENST_IJLi3ELi4EEEElEELi128ELi128ELi16ELi4ELi4ELi4ELi1ENST_IJLi8ELi2EEEES1W_NST_IJLi8ELi1ELi1ELi4EEEENST_IJLi2ELi1ELi128ELi1EEEENST_IJLi1ELi2ELi0ELi3EEEES1Z_NST_IJLi4ELi1ELi1ELi4EEEES1Z_NST_IJLi1ELi1ELi1ELi4EEEES1X_S1Y_S1Z_S1Z_S20_S1Z_S21_NST_IJLi0ELi1ELi2ELi3ELi4ELi5EEEELi5ELi4EEEaNS5_IJPKaEEEaS8_S8_S9_NSB_INS5_IJSE_SG_SI_SI_SG_SG_SK_SK_SG_SN_SN_SP_SP_SR_SG_SG_NSQ_INS5_IJiNS_17integral_constantIiLi128EEEEEELb0EEENSF_INS27_IiLi4EEEEEEEENS5_IJSU_SV_SW_SX_SY_SZ_S10_S11_S12_S13_S14_S15_S16_S17_S18_NST_IJLi19EEEES1G_NST_IJLi20EEEEEEENS5_IJS1A_SZ_S10_S11_S12_S1B_S1C_S1D_S1E_S15_S16_S18_S17_S1F_S1G_NST_IJLi22EEEENST_IJLi23ELi24EEEENST_IJLi25EEEEEEENST_IJLi22ELi23ELi24ELi25EEEElEENSB_INS5_IJSR_SP_SP_SR_SG_SG_S2A_S2C_EEENS5_IJSU_SV_SW_SY_SX_SZ_S11_S10_EEENS5_IJS1M_SX_SY_S1N_S11_S12_NST_IJLi9ELi10EEEENST_IJLi11EEEEEEENST_IJLi8ELi9ELi10ELi11EEEElEENS5_IJNSB_INS5_IJSK_SP_SP_NSQ_INS5_IJiNS27_IiLi2EEENS27_IiLi64EEEEEELb0EEES2X_EEENS5_IJSU_SV_SW_SX_SY_EEENS5_IJS1M_SX_SY_NST_IJLi5ELi6ELi7EEEENST_IJLi8ELi9ELi10EEEEEEENST_IJLi5ELi6ELi7ELi8ELi9ELi10EEEElEEEEES34_NS_31BlockToCTileMap_M00_N00_M01_N01ILi128ELi128ES1V_Lb0EEENS1_30ComputePtrOffsetOfStridedBatchILi1ELi1ELi1EvEELb1ELb1EEEvPKT0_S3C_T1_PT2_T3_T4_T5_iT6_T7_T8_T9_T10_T11_
    .private_segment_fixed_size: 480
    .sgpr_count:     106
    .sgpr_spill_count: 2
    .symbol:         _ZN2ck16tensor_operation6device12_GLOBAL__N_137kernel_grouped_conv_fwd_dl_multiple_dINS_32GridwiseGemmDlMultipleD_km_kn_mnILi256EaiNS_5TupleIJaEEEaNS0_12element_wise11PassThroughES8_NS7_7AddReluELNS_25InMemoryDataOperationEnumE0ENS_16TensorDescriptorINS5_IJNS_5EmbedINS5_IJiiiiEEESD_Lb0EEENS_11PassThroughIiEENS_3PadIiiiLb0EEESI_SG_SG_NSC_INS5_IJiiEEESJ_Lb0EEESK_SG_NS_23Merge_v2_magic_divisionINS5_IJiiiEEEEESN_NS_8RightPadIiiLb0EEESP_NS_7UnMergeISJ_Lb0EEESG_EEENS5_IJNS_8SequenceIJLi0EEEENST_IJLi1EEEENST_IJLi2EEEENST_IJLi3EEEENST_IJLi4EEEENST_IJLi5EEEENST_IJLi6EEEENST_IJLi7EEEENST_IJLi8EEEENST_IJLi9ELi11ELi13EEEENST_IJLi10ELi12ELi14EEEENST_IJLi15EEEENST_IJLi16EEEENST_IJLi18EEEENST_IJLi17EEEEEEENS5_IJNST_IJLi1ELi2ELi3ELi4EEEESZ_S10_S11_S12_NST_IJLi9EEEENST_IJLi10ELi11EEEENST_IJLi12ELi13EEEENST_IJLi14EEEES15_S16_S18_S17_NST_IJLi19ELi20EEEENST_IJLi21EEEEEEENST_IJLi19ELi21ELi20EEEElEENSB_INS5_IJSR_SP_SP_SR_SG_EEENS5_IJSU_SV_SW_SY_SX_EEENS5_IJNST_IJLi1ELi2EEEESX_SY_NST_IJLi5ELi6EEEES11_EEENST_IJLi5ELi7ELi6EEEElEENSB_INS5_IJSK_SP_SP_EEENS5_IJSU_SV_SW_EEENS5_IJS1M_SX_SY_EEENST_IJLi3ELi4EEEElEELi128ELi128ELi16ELi4ELi4ELi4ELi1ENST_IJLi8ELi2EEEES1W_NST_IJLi8ELi1ELi1ELi4EEEENST_IJLi2ELi1ELi128ELi1EEEENST_IJLi1ELi2ELi0ELi3EEEES1Z_NST_IJLi4ELi1ELi1ELi4EEEES1Z_NST_IJLi1ELi1ELi1ELi4EEEES1X_S1Y_S1Z_S1Z_S20_S1Z_S21_NST_IJLi0ELi1ELi2ELi3ELi4ELi5EEEELi5ELi4EEEaNS5_IJPKaEEEaS8_S8_S9_NSB_INS5_IJSE_SG_SI_SI_SG_SG_SK_SK_SG_SN_SN_SP_SP_SR_SG_SG_NSQ_INS5_IJiNS_17integral_constantIiLi128EEEEEELb0EEENSF_INS27_IiLi4EEEEEEEENS5_IJSU_SV_SW_SX_SY_SZ_S10_S11_S12_S13_S14_S15_S16_S17_S18_NST_IJLi19EEEES1G_NST_IJLi20EEEEEEENS5_IJS1A_SZ_S10_S11_S12_S1B_S1C_S1D_S1E_S15_S16_S18_S17_S1F_S1G_NST_IJLi22EEEENST_IJLi23ELi24EEEENST_IJLi25EEEEEEENST_IJLi22ELi23ELi24ELi25EEEElEENSB_INS5_IJSR_SP_SP_SR_SG_SG_S2A_S2C_EEENS5_IJSU_SV_SW_SY_SX_SZ_S11_S10_EEENS5_IJS1M_SX_SY_S1N_S11_S12_NST_IJLi9ELi10EEEENST_IJLi11EEEEEEENST_IJLi8ELi9ELi10ELi11EEEElEENS5_IJNSB_INS5_IJSK_SP_SP_NSQ_INS5_IJiNS27_IiLi2EEENS27_IiLi64EEEEEELb0EEES2X_EEENS5_IJSU_SV_SW_SX_SY_EEENS5_IJS1M_SX_SY_NST_IJLi5ELi6ELi7EEEENST_IJLi8ELi9ELi10EEEEEEENST_IJLi5ELi6ELi7ELi8ELi9ELi10EEEElEEEEES34_NS_31BlockToCTileMap_M00_N00_M01_N01ILi128ELi128ES1V_Lb0EEENS1_30ComputePtrOffsetOfStridedBatchILi1ELi1ELi1EvEELb1ELb1EEEvPKT0_S3C_T1_PT2_T3_T4_T5_iT6_T7_T8_T9_T10_T11_.kd
    .uniform_work_group_size: 1
    .uses_dynamic_stack: false
    .vgpr_count:     90
    .vgpr_spill_count: 0
    .wavefront_size: 64
  - .agpr_count:     0
    .args:
      - .address_space:  global
        .offset:         0
        .size:           8
        .value_kind:     global_buffer
      - .address_space:  global
        .offset:         8
        .size:           8
        .value_kind:     global_buffer
      - .address_space:  global
        .offset:         16
        .size:           8
        .value_kind:     global_buffer
      - .address_space:  global
        .offset:         24
        .size:           8
        .value_kind:     global_buffer
      - .offset:         32
        .size:           1
        .value_kind:     by_value
      - .offset:         33
        .size:           1
        .value_kind:     by_value
      - .offset:         34
        .size:           1
        .value_kind:     by_value
      - .offset:         36
        .size:           4
        .value_kind:     by_value
      - .offset:         40
        .size:           264
        .value_kind:     by_value
      - .offset:         304
        .size:           96
        .value_kind:     by_value
      - .offset:         400
        .size:           80
        .value_kind:     by_value
      - .offset:         480
        .size:           80
        .value_kind:     by_value
      - .offset:         560
        .size:           112
        .value_kind:     by_value
      - .offset:         672
        .size:           40
        .value_kind:     by_value
      - .offset:         712
        .size:           4
        .value_kind:     hidden_block_count_x
      - .offset:         716
        .size:           4
        .value_kind:     hidden_block_count_y
      - .offset:         720
        .size:           4
        .value_kind:     hidden_block_count_z
      - .offset:         724
        .size:           2
        .value_kind:     hidden_group_size_x
      - .offset:         726
        .size:           2
        .value_kind:     hidden_group_size_y
      - .offset:         728
        .size:           2
        .value_kind:     hidden_group_size_z
      - .offset:         730
        .size:           2
        .value_kind:     hidden_remainder_x
      - .offset:         732
        .size:           2
        .value_kind:     hidden_remainder_y
      - .offset:         734
        .size:           2
        .value_kind:     hidden_remainder_z
      - .offset:         752
        .size:           8
        .value_kind:     hidden_global_offset_x
      - .offset:         760
        .size:           8
        .value_kind:     hidden_global_offset_y
      - .offset:         768
        .size:           8
        .value_kind:     hidden_global_offset_z
      - .offset:         776
        .size:           2
        .value_kind:     hidden_grid_dims
    .group_segment_fixed_size: 32768
    .kernarg_segment_align: 8
    .kernarg_segment_size: 968
    .language:       OpenCL C
    .language_version:
      - 2
      - 0
    .max_flat_workgroup_size: 256
    .name:           _ZN2ck16tensor_operation6device12_GLOBAL__N_137kernel_grouped_conv_fwd_dl_multiple_dINS_32GridwiseGemmDlMultipleD_km_kn_mnILi256EaiNS_5TupleIJaEEEaNS0_12element_wise11PassThroughES8_NS7_7AddReluELNS_25InMemoryDataOperationEnumE0ENS_16TensorDescriptorINS5_IJNS_5EmbedINS5_IJiiiiEEESD_Lb0EEENS_11PassThroughIiEENS_3PadIiiiLb0EEESI_SG_SG_NSC_INS5_IJiiEEESJ_Lb0EEESK_SG_NS_23Merge_v2_magic_divisionINS5_IJiiiEEEEESN_NS_8RightPadIiiLb0EEESP_NS_7UnMergeISJ_Lb0EEESG_EEENS5_IJNS_8SequenceIJLi0EEEENST_IJLi1EEEENST_IJLi2EEEENST_IJLi3EEEENST_IJLi4EEEENST_IJLi5EEEENST_IJLi6EEEENST_IJLi7EEEENST_IJLi8EEEENST_IJLi9ELi11ELi13EEEENST_IJLi10ELi12ELi14EEEENST_IJLi15EEEENST_IJLi16EEEENST_IJLi18EEEENST_IJLi17EEEEEEENS5_IJNST_IJLi1ELi2ELi3ELi4EEEESZ_S10_S11_S12_NST_IJLi9EEEENST_IJLi10ELi11EEEENST_IJLi12ELi13EEEENST_IJLi14EEEES15_S16_S18_S17_NST_IJLi19ELi20EEEENST_IJLi21EEEEEEENST_IJLi19ELi21ELi20EEEElEENSB_INS5_IJSR_SP_SP_SR_SG_EEENS5_IJSU_SV_SW_SY_SX_EEENS5_IJNST_IJLi1ELi2EEEESX_SY_NST_IJLi5ELi6EEEES11_EEENST_IJLi5ELi7ELi6EEEElEENSB_INS5_IJSK_SP_SP_EEENS5_IJSU_SV_SW_EEENS5_IJS1M_SX_SY_EEENST_IJLi3ELi4EEEElEELi128ELi128ELi16ELi4ELi4ELi4ELi1ENST_IJLi8ELi2EEEES1W_NST_IJLi8ELi1ELi1ELi4EEEENST_IJLi2ELi1ELi128ELi1EEEENST_IJLi1ELi2ELi0ELi3EEEES1Z_NST_IJLi4ELi1ELi1ELi4EEEES1Z_NST_IJLi1ELi1ELi1ELi4EEEES1X_S1Y_S1Z_S1Z_S20_S1Z_S21_NST_IJLi0ELi1ELi2ELi3ELi4ELi5EEEELi5ELi4EEEaNS5_IJPKaEEEaS8_S8_S9_NSB_INS5_IJSE_SG_SI_SI_SG_SG_SK_SK_SG_SN_SN_SP_SP_SR_SG_SG_NSQ_INS5_IJiNS_17integral_constantIiLi128EEEEEELb0EEENSF_INS27_IiLi4EEEEEEEENS5_IJSU_SV_SW_SX_SY_SZ_S10_S11_S12_S13_S14_S15_S16_S17_S18_NST_IJLi19EEEES1G_NST_IJLi20EEEEEEENS5_IJS1A_SZ_S10_S11_S12_S1B_S1C_S1D_S1E_S15_S16_S18_S17_S1F_S1G_NST_IJLi22EEEENST_IJLi23ELi24EEEENST_IJLi25EEEEEEENST_IJLi22ELi23ELi24ELi25EEEElEENSB_INS5_IJSR_SP_SP_SR_SG_SG_S2A_S2C_EEENS5_IJSU_SV_SW_SY_SX_SZ_S11_S10_EEENS5_IJS1M_SX_SY_S1N_S11_S12_NST_IJLi9ELi10EEEENST_IJLi11EEEEEEENST_IJLi8ELi9ELi10ELi11EEEElEENS5_IJNSB_INS5_IJSK_SP_SP_NSQ_INS5_IJiNS27_IiLi2EEENS27_IiLi64EEEEEELb0EEES2X_EEENS5_IJSU_SV_SW_SX_SY_EEENS5_IJS1M_SX_SY_NST_IJLi5ELi6ELi7EEEENST_IJLi8ELi9ELi10EEEEEEENST_IJLi5ELi6ELi7ELi8ELi9ELi10EEEElEEEEES34_NS_31BlockToCTileMap_M00_N00_M01_N01ILi128ELi128ES1V_Lb0EEENS1_30ComputePtrOffsetOfStridedBatchILi1ELi1ELi1EvEELb1ELb0EEEvPKT0_S3C_T1_PT2_T3_T4_T5_iT6_T7_T8_T9_T10_T11_
    .private_segment_fixed_size: 480
    .sgpr_count:     106
    .sgpr_spill_count: 7
    .symbol:         _ZN2ck16tensor_operation6device12_GLOBAL__N_137kernel_grouped_conv_fwd_dl_multiple_dINS_32GridwiseGemmDlMultipleD_km_kn_mnILi256EaiNS_5TupleIJaEEEaNS0_12element_wise11PassThroughES8_NS7_7AddReluELNS_25InMemoryDataOperationEnumE0ENS_16TensorDescriptorINS5_IJNS_5EmbedINS5_IJiiiiEEESD_Lb0EEENS_11PassThroughIiEENS_3PadIiiiLb0EEESI_SG_SG_NSC_INS5_IJiiEEESJ_Lb0EEESK_SG_NS_23Merge_v2_magic_divisionINS5_IJiiiEEEEESN_NS_8RightPadIiiLb0EEESP_NS_7UnMergeISJ_Lb0EEESG_EEENS5_IJNS_8SequenceIJLi0EEEENST_IJLi1EEEENST_IJLi2EEEENST_IJLi3EEEENST_IJLi4EEEENST_IJLi5EEEENST_IJLi6EEEENST_IJLi7EEEENST_IJLi8EEEENST_IJLi9ELi11ELi13EEEENST_IJLi10ELi12ELi14EEEENST_IJLi15EEEENST_IJLi16EEEENST_IJLi18EEEENST_IJLi17EEEEEEENS5_IJNST_IJLi1ELi2ELi3ELi4EEEESZ_S10_S11_S12_NST_IJLi9EEEENST_IJLi10ELi11EEEENST_IJLi12ELi13EEEENST_IJLi14EEEES15_S16_S18_S17_NST_IJLi19ELi20EEEENST_IJLi21EEEEEEENST_IJLi19ELi21ELi20EEEElEENSB_INS5_IJSR_SP_SP_SR_SG_EEENS5_IJSU_SV_SW_SY_SX_EEENS5_IJNST_IJLi1ELi2EEEESX_SY_NST_IJLi5ELi6EEEES11_EEENST_IJLi5ELi7ELi6EEEElEENSB_INS5_IJSK_SP_SP_EEENS5_IJSU_SV_SW_EEENS5_IJS1M_SX_SY_EEENST_IJLi3ELi4EEEElEELi128ELi128ELi16ELi4ELi4ELi4ELi1ENST_IJLi8ELi2EEEES1W_NST_IJLi8ELi1ELi1ELi4EEEENST_IJLi2ELi1ELi128ELi1EEEENST_IJLi1ELi2ELi0ELi3EEEES1Z_NST_IJLi4ELi1ELi1ELi4EEEES1Z_NST_IJLi1ELi1ELi1ELi4EEEES1X_S1Y_S1Z_S1Z_S20_S1Z_S21_NST_IJLi0ELi1ELi2ELi3ELi4ELi5EEEELi5ELi4EEEaNS5_IJPKaEEEaS8_S8_S9_NSB_INS5_IJSE_SG_SI_SI_SG_SG_SK_SK_SG_SN_SN_SP_SP_SR_SG_SG_NSQ_INS5_IJiNS_17integral_constantIiLi128EEEEEELb0EEENSF_INS27_IiLi4EEEEEEEENS5_IJSU_SV_SW_SX_SY_SZ_S10_S11_S12_S13_S14_S15_S16_S17_S18_NST_IJLi19EEEES1G_NST_IJLi20EEEEEEENS5_IJS1A_SZ_S10_S11_S12_S1B_S1C_S1D_S1E_S15_S16_S18_S17_S1F_S1G_NST_IJLi22EEEENST_IJLi23ELi24EEEENST_IJLi25EEEEEEENST_IJLi22ELi23ELi24ELi25EEEElEENSB_INS5_IJSR_SP_SP_SR_SG_SG_S2A_S2C_EEENS5_IJSU_SV_SW_SY_SX_SZ_S11_S10_EEENS5_IJS1M_SX_SY_S1N_S11_S12_NST_IJLi9ELi10EEEENST_IJLi11EEEEEEENST_IJLi8ELi9ELi10ELi11EEEElEENS5_IJNSB_INS5_IJSK_SP_SP_NSQ_INS5_IJiNS27_IiLi2EEENS27_IiLi64EEEEEELb0EEES2X_EEENS5_IJSU_SV_SW_SX_SY_EEENS5_IJS1M_SX_SY_NST_IJLi5ELi6ELi7EEEENST_IJLi8ELi9ELi10EEEEEEENST_IJLi5ELi6ELi7ELi8ELi9ELi10EEEElEEEEES34_NS_31BlockToCTileMap_M00_N00_M01_N01ILi128ELi128ES1V_Lb0EEENS1_30ComputePtrOffsetOfStridedBatchILi1ELi1ELi1EvEELb1ELb0EEEvPKT0_S3C_T1_PT2_T3_T4_T5_iT6_T7_T8_T9_T10_T11_.kd
    .uniform_work_group_size: 1
    .uses_dynamic_stack: false
    .vgpr_count:     112
    .vgpr_spill_count: 0
    .wavefront_size: 64
  - .agpr_count:     0
    .args:
      - .address_space:  global
        .offset:         0
        .size:           8
        .value_kind:     global_buffer
      - .address_space:  global
        .offset:         8
        .size:           8
        .value_kind:     global_buffer
      - .address_space:  global
        .offset:         16
        .size:           8
        .value_kind:     global_buffer
      - .address_space:  global
        .offset:         24
        .size:           8
        .value_kind:     global_buffer
      - .offset:         32
        .size:           1
        .value_kind:     by_value
      - .offset:         33
        .size:           1
        .value_kind:     by_value
      - .offset:         34
        .size:           1
        .value_kind:     by_value
      - .offset:         36
        .size:           4
        .value_kind:     by_value
      - .offset:         40
        .size:           264
        .value_kind:     by_value
      - .offset:         304
        .size:           96
        .value_kind:     by_value
      - .offset:         400
        .size:           80
        .value_kind:     by_value
      - .offset:         480
        .size:           80
        .value_kind:     by_value
      - .offset:         560
        .size:           112
        .value_kind:     by_value
      - .offset:         672
        .size:           40
        .value_kind:     by_value
      - .offset:         712
        .size:           4
        .value_kind:     hidden_block_count_x
      - .offset:         716
        .size:           4
        .value_kind:     hidden_block_count_y
      - .offset:         720
        .size:           4
        .value_kind:     hidden_block_count_z
      - .offset:         724
        .size:           2
        .value_kind:     hidden_group_size_x
      - .offset:         726
        .size:           2
        .value_kind:     hidden_group_size_y
      - .offset:         728
        .size:           2
        .value_kind:     hidden_group_size_z
      - .offset:         730
        .size:           2
        .value_kind:     hidden_remainder_x
      - .offset:         732
        .size:           2
        .value_kind:     hidden_remainder_y
      - .offset:         734
        .size:           2
        .value_kind:     hidden_remainder_z
      - .offset:         752
        .size:           8
        .value_kind:     hidden_global_offset_x
      - .offset:         760
        .size:           8
        .value_kind:     hidden_global_offset_y
      - .offset:         768
        .size:           8
        .value_kind:     hidden_global_offset_z
      - .offset:         776
        .size:           2
        .value_kind:     hidden_grid_dims
    .group_segment_fixed_size: 32768
    .kernarg_segment_align: 8
    .kernarg_segment_size: 968
    .language:       OpenCL C
    .language_version:
      - 2
      - 0
    .max_flat_workgroup_size: 256
    .name:           _ZN2ck16tensor_operation6device12_GLOBAL__N_137kernel_grouped_conv_fwd_dl_multiple_dINS_32GridwiseGemmDlMultipleD_km_kn_mnILi256EaiNS_5TupleIJaEEEaNS0_12element_wise11PassThroughES8_NS7_7AddReluELNS_25InMemoryDataOperationEnumE0ENS_16TensorDescriptorINS5_IJNS_5EmbedINS5_IJiiiiEEESD_Lb0EEENS_11PassThroughIiEENS_3PadIiiiLb0EEESI_SG_SG_NSC_INS5_IJiiEEESJ_Lb0EEESK_SG_NS_23Merge_v2_magic_divisionINS5_IJiiiEEEEESN_NS_8RightPadIiiLb0EEESP_NS_7UnMergeISJ_Lb0EEESG_EEENS5_IJNS_8SequenceIJLi0EEEENST_IJLi1EEEENST_IJLi2EEEENST_IJLi3EEEENST_IJLi4EEEENST_IJLi5EEEENST_IJLi6EEEENST_IJLi7EEEENST_IJLi8EEEENST_IJLi9ELi11ELi13EEEENST_IJLi10ELi12ELi14EEEENST_IJLi15EEEENST_IJLi16EEEENST_IJLi18EEEENST_IJLi17EEEEEEENS5_IJNST_IJLi1ELi2ELi3ELi4EEEESZ_S10_S11_S12_NST_IJLi9EEEENST_IJLi10ELi11EEEENST_IJLi12ELi13EEEENST_IJLi14EEEES15_S16_S18_S17_NST_IJLi19ELi20EEEENST_IJLi21EEEEEEENST_IJLi19ELi21ELi20EEEElEENSB_INS5_IJSR_SP_SP_SR_SG_EEENS5_IJSU_SV_SW_SY_SX_EEENS5_IJNST_IJLi1ELi2EEEESX_SY_NST_IJLi5ELi6EEEES11_EEENST_IJLi5ELi7ELi6EEEElEENSB_INS5_IJSK_SP_SP_EEENS5_IJSU_SV_SW_EEENS5_IJS1M_SX_SY_EEENST_IJLi3ELi4EEEElEELi128ELi128ELi16ELi4ELi4ELi4ELi1ENST_IJLi8ELi2EEEES1W_NST_IJLi8ELi1ELi1ELi4EEEENST_IJLi2ELi1ELi128ELi1EEEENST_IJLi1ELi2ELi0ELi3EEEES1Z_NST_IJLi4ELi1ELi1ELi4EEEES1Z_NST_IJLi1ELi1ELi1ELi4EEEES1X_S1Y_S1Z_S1Z_S20_S1Z_S21_NST_IJLi0ELi1ELi2ELi3ELi4ELi5EEEELi5ELi4EEEaNS5_IJPKaEEEaS8_S8_S9_NSB_INS5_IJSE_SG_SI_SI_SG_SG_SK_SK_SG_SN_SN_SP_SP_SR_SG_SG_NSQ_INS5_IJiNS_17integral_constantIiLi128EEEEEELb0EEENSF_INS27_IiLi4EEEEEEEENS5_IJSU_SV_SW_SX_SY_SZ_S10_S11_S12_S13_S14_S15_S16_S17_S18_NST_IJLi19EEEES1G_NST_IJLi20EEEEEEENS5_IJS1A_SZ_S10_S11_S12_S1B_S1C_S1D_S1E_S15_S16_S18_S17_S1F_S1G_NST_IJLi22EEEENST_IJLi23ELi24EEEENST_IJLi25EEEEEEENST_IJLi22ELi23ELi24ELi25EEEElEENSB_INS5_IJSR_SP_SP_SR_SG_SG_S2A_S2C_EEENS5_IJSU_SV_SW_SY_SX_SZ_S11_S10_EEENS5_IJS1M_SX_SY_S1N_S11_S12_NST_IJLi9ELi10EEEENST_IJLi11EEEEEEENST_IJLi8ELi9ELi10ELi11EEEElEENS5_IJNSB_INS5_IJSK_SP_SP_NSQ_INS5_IJiNS27_IiLi2EEENS27_IiLi64EEEEEELb0EEES2X_EEENS5_IJSU_SV_SW_SX_SY_EEENS5_IJS1M_SX_SY_NST_IJLi5ELi6ELi7EEEENST_IJLi8ELi9ELi10EEEEEEENST_IJLi5ELi6ELi7ELi8ELi9ELi10EEEElEEEEES34_NS_31BlockToCTileMap_M00_N00_M01_N01ILi128ELi128ES1V_Lb0EEENS1_30ComputePtrOffsetOfStridedBatchILi1ELi1ELi1EvEELb0ELb1EEEvPKT0_S3C_T1_PT2_T3_T4_T5_iT6_T7_T8_T9_T10_T11_
    .private_segment_fixed_size: 480
    .sgpr_count:     88
    .sgpr_spill_count: 0
    .symbol:         _ZN2ck16tensor_operation6device12_GLOBAL__N_137kernel_grouped_conv_fwd_dl_multiple_dINS_32GridwiseGemmDlMultipleD_km_kn_mnILi256EaiNS_5TupleIJaEEEaNS0_12element_wise11PassThroughES8_NS7_7AddReluELNS_25InMemoryDataOperationEnumE0ENS_16TensorDescriptorINS5_IJNS_5EmbedINS5_IJiiiiEEESD_Lb0EEENS_11PassThroughIiEENS_3PadIiiiLb0EEESI_SG_SG_NSC_INS5_IJiiEEESJ_Lb0EEESK_SG_NS_23Merge_v2_magic_divisionINS5_IJiiiEEEEESN_NS_8RightPadIiiLb0EEESP_NS_7UnMergeISJ_Lb0EEESG_EEENS5_IJNS_8SequenceIJLi0EEEENST_IJLi1EEEENST_IJLi2EEEENST_IJLi3EEEENST_IJLi4EEEENST_IJLi5EEEENST_IJLi6EEEENST_IJLi7EEEENST_IJLi8EEEENST_IJLi9ELi11ELi13EEEENST_IJLi10ELi12ELi14EEEENST_IJLi15EEEENST_IJLi16EEEENST_IJLi18EEEENST_IJLi17EEEEEEENS5_IJNST_IJLi1ELi2ELi3ELi4EEEESZ_S10_S11_S12_NST_IJLi9EEEENST_IJLi10ELi11EEEENST_IJLi12ELi13EEEENST_IJLi14EEEES15_S16_S18_S17_NST_IJLi19ELi20EEEENST_IJLi21EEEEEEENST_IJLi19ELi21ELi20EEEElEENSB_INS5_IJSR_SP_SP_SR_SG_EEENS5_IJSU_SV_SW_SY_SX_EEENS5_IJNST_IJLi1ELi2EEEESX_SY_NST_IJLi5ELi6EEEES11_EEENST_IJLi5ELi7ELi6EEEElEENSB_INS5_IJSK_SP_SP_EEENS5_IJSU_SV_SW_EEENS5_IJS1M_SX_SY_EEENST_IJLi3ELi4EEEElEELi128ELi128ELi16ELi4ELi4ELi4ELi1ENST_IJLi8ELi2EEEES1W_NST_IJLi8ELi1ELi1ELi4EEEENST_IJLi2ELi1ELi128ELi1EEEENST_IJLi1ELi2ELi0ELi3EEEES1Z_NST_IJLi4ELi1ELi1ELi4EEEES1Z_NST_IJLi1ELi1ELi1ELi4EEEES1X_S1Y_S1Z_S1Z_S20_S1Z_S21_NST_IJLi0ELi1ELi2ELi3ELi4ELi5EEEELi5ELi4EEEaNS5_IJPKaEEEaS8_S8_S9_NSB_INS5_IJSE_SG_SI_SI_SG_SG_SK_SK_SG_SN_SN_SP_SP_SR_SG_SG_NSQ_INS5_IJiNS_17integral_constantIiLi128EEEEEELb0EEENSF_INS27_IiLi4EEEEEEEENS5_IJSU_SV_SW_SX_SY_SZ_S10_S11_S12_S13_S14_S15_S16_S17_S18_NST_IJLi19EEEES1G_NST_IJLi20EEEEEEENS5_IJS1A_SZ_S10_S11_S12_S1B_S1C_S1D_S1E_S15_S16_S18_S17_S1F_S1G_NST_IJLi22EEEENST_IJLi23ELi24EEEENST_IJLi25EEEEEEENST_IJLi22ELi23ELi24ELi25EEEElEENSB_INS5_IJSR_SP_SP_SR_SG_SG_S2A_S2C_EEENS5_IJSU_SV_SW_SY_SX_SZ_S11_S10_EEENS5_IJS1M_SX_SY_S1N_S11_S12_NST_IJLi9ELi10EEEENST_IJLi11EEEEEEENST_IJLi8ELi9ELi10ELi11EEEElEENS5_IJNSB_INS5_IJSK_SP_SP_NSQ_INS5_IJiNS27_IiLi2EEENS27_IiLi64EEEEEELb0EEES2X_EEENS5_IJSU_SV_SW_SX_SY_EEENS5_IJS1M_SX_SY_NST_IJLi5ELi6ELi7EEEENST_IJLi8ELi9ELi10EEEEEEENST_IJLi5ELi6ELi7ELi8ELi9ELi10EEEElEEEEES34_NS_31BlockToCTileMap_M00_N00_M01_N01ILi128ELi128ES1V_Lb0EEENS1_30ComputePtrOffsetOfStridedBatchILi1ELi1ELi1EvEELb0ELb1EEEvPKT0_S3C_T1_PT2_T3_T4_T5_iT6_T7_T8_T9_T10_T11_.kd
    .uniform_work_group_size: 1
    .uses_dynamic_stack: false
    .vgpr_count:     74
    .vgpr_spill_count: 0
    .wavefront_size: 64
  - .agpr_count:     0
    .args:
      - .address_space:  global
        .offset:         0
        .size:           8
        .value_kind:     global_buffer
      - .address_space:  global
        .offset:         8
        .size:           8
        .value_kind:     global_buffer
      - .address_space:  global
        .offset:         16
        .size:           8
        .value_kind:     global_buffer
      - .address_space:  global
        .offset:         24
        .size:           8
        .value_kind:     global_buffer
      - .offset:         32
        .size:           1
        .value_kind:     by_value
      - .offset:         33
        .size:           1
        .value_kind:     by_value
      - .offset:         34
        .size:           1
        .value_kind:     by_value
      - .offset:         36
        .size:           4
        .value_kind:     by_value
      - .offset:         40
        .size:           264
        .value_kind:     by_value
      - .offset:         304
        .size:           96
        .value_kind:     by_value
      - .offset:         400
        .size:           80
        .value_kind:     by_value
      - .offset:         480
        .size:           80
        .value_kind:     by_value
      - .offset:         560
        .size:           112
        .value_kind:     by_value
      - .offset:         672
        .size:           40
        .value_kind:     by_value
      - .offset:         712
        .size:           4
        .value_kind:     hidden_block_count_x
      - .offset:         716
        .size:           4
        .value_kind:     hidden_block_count_y
      - .offset:         720
        .size:           4
        .value_kind:     hidden_block_count_z
      - .offset:         724
        .size:           2
        .value_kind:     hidden_group_size_x
      - .offset:         726
        .size:           2
        .value_kind:     hidden_group_size_y
      - .offset:         728
        .size:           2
        .value_kind:     hidden_group_size_z
      - .offset:         730
        .size:           2
        .value_kind:     hidden_remainder_x
      - .offset:         732
        .size:           2
        .value_kind:     hidden_remainder_y
      - .offset:         734
        .size:           2
        .value_kind:     hidden_remainder_z
      - .offset:         752
        .size:           8
        .value_kind:     hidden_global_offset_x
      - .offset:         760
        .size:           8
        .value_kind:     hidden_global_offset_y
      - .offset:         768
        .size:           8
        .value_kind:     hidden_global_offset_z
      - .offset:         776
        .size:           2
        .value_kind:     hidden_grid_dims
    .group_segment_fixed_size: 32768
    .kernarg_segment_align: 8
    .kernarg_segment_size: 968
    .language:       OpenCL C
    .language_version:
      - 2
      - 0
    .max_flat_workgroup_size: 256
    .name:           _ZN2ck16tensor_operation6device12_GLOBAL__N_137kernel_grouped_conv_fwd_dl_multiple_dINS_32GridwiseGemmDlMultipleD_km_kn_mnILi256EaiNS_5TupleIJaEEEaNS0_12element_wise11PassThroughES8_NS7_7AddReluELNS_25InMemoryDataOperationEnumE0ENS_16TensorDescriptorINS5_IJNS_5EmbedINS5_IJiiiiEEESD_Lb0EEENS_11PassThroughIiEENS_3PadIiiiLb0EEESI_SG_SG_NSC_INS5_IJiiEEESJ_Lb0EEESK_SG_NS_23Merge_v2_magic_divisionINS5_IJiiiEEEEESN_NS_8RightPadIiiLb0EEESP_NS_7UnMergeISJ_Lb0EEESG_EEENS5_IJNS_8SequenceIJLi0EEEENST_IJLi1EEEENST_IJLi2EEEENST_IJLi3EEEENST_IJLi4EEEENST_IJLi5EEEENST_IJLi6EEEENST_IJLi7EEEENST_IJLi8EEEENST_IJLi9ELi11ELi13EEEENST_IJLi10ELi12ELi14EEEENST_IJLi15EEEENST_IJLi16EEEENST_IJLi18EEEENST_IJLi17EEEEEEENS5_IJNST_IJLi1ELi2ELi3ELi4EEEESZ_S10_S11_S12_NST_IJLi9EEEENST_IJLi10ELi11EEEENST_IJLi12ELi13EEEENST_IJLi14EEEES15_S16_S18_S17_NST_IJLi19ELi20EEEENST_IJLi21EEEEEEENST_IJLi19ELi21ELi20EEEElEENSB_INS5_IJSR_SP_SP_SR_SG_EEENS5_IJSU_SV_SW_SY_SX_EEENS5_IJNST_IJLi1ELi2EEEESX_SY_NST_IJLi5ELi6EEEES11_EEENST_IJLi5ELi7ELi6EEEElEENSB_INS5_IJSK_SP_SP_EEENS5_IJSU_SV_SW_EEENS5_IJS1M_SX_SY_EEENST_IJLi3ELi4EEEElEELi128ELi128ELi16ELi4ELi4ELi4ELi1ENST_IJLi8ELi2EEEES1W_NST_IJLi8ELi1ELi1ELi4EEEENST_IJLi2ELi1ELi128ELi1EEEENST_IJLi1ELi2ELi0ELi3EEEES1Z_NST_IJLi4ELi1ELi1ELi4EEEES1Z_NST_IJLi1ELi1ELi1ELi4EEEES1X_S1Y_S1Z_S1Z_S20_S1Z_S21_NST_IJLi0ELi1ELi2ELi3ELi4ELi5EEEELi5ELi4EEEaNS5_IJPKaEEEaS8_S8_S9_NSB_INS5_IJSE_SG_SI_SI_SG_SG_SK_SK_SG_SN_SN_SP_SP_SR_SG_SG_NSQ_INS5_IJiNS_17integral_constantIiLi128EEEEEELb0EEENSF_INS27_IiLi4EEEEEEEENS5_IJSU_SV_SW_SX_SY_SZ_S10_S11_S12_S13_S14_S15_S16_S17_S18_NST_IJLi19EEEES1G_NST_IJLi20EEEEEEENS5_IJS1A_SZ_S10_S11_S12_S1B_S1C_S1D_S1E_S15_S16_S18_S17_S1F_S1G_NST_IJLi22EEEENST_IJLi23ELi24EEEENST_IJLi25EEEEEEENST_IJLi22ELi23ELi24ELi25EEEElEENSB_INS5_IJSR_SP_SP_SR_SG_SG_S2A_S2C_EEENS5_IJSU_SV_SW_SY_SX_SZ_S11_S10_EEENS5_IJS1M_SX_SY_S1N_S11_S12_NST_IJLi9ELi10EEEENST_IJLi11EEEEEEENST_IJLi8ELi9ELi10ELi11EEEElEENS5_IJNSB_INS5_IJSK_SP_SP_NSQ_INS5_IJiNS27_IiLi2EEENS27_IiLi64EEEEEELb0EEES2X_EEENS5_IJSU_SV_SW_SX_SY_EEENS5_IJS1M_SX_SY_NST_IJLi5ELi6ELi7EEEENST_IJLi8ELi9ELi10EEEEEEENST_IJLi5ELi6ELi7ELi8ELi9ELi10EEEElEEEEES34_NS_31BlockToCTileMap_M00_N00_M01_N01ILi128ELi128ES1V_Lb0EEENS1_30ComputePtrOffsetOfStridedBatchILi1ELi1ELi1EvEELb0ELb0EEEvPKT0_S3C_T1_PT2_T3_T4_T5_iT6_T7_T8_T9_T10_T11_
    .private_segment_fixed_size: 448
    .sgpr_count:     88
    .sgpr_spill_count: 0
    .symbol:         _ZN2ck16tensor_operation6device12_GLOBAL__N_137kernel_grouped_conv_fwd_dl_multiple_dINS_32GridwiseGemmDlMultipleD_km_kn_mnILi256EaiNS_5TupleIJaEEEaNS0_12element_wise11PassThroughES8_NS7_7AddReluELNS_25InMemoryDataOperationEnumE0ENS_16TensorDescriptorINS5_IJNS_5EmbedINS5_IJiiiiEEESD_Lb0EEENS_11PassThroughIiEENS_3PadIiiiLb0EEESI_SG_SG_NSC_INS5_IJiiEEESJ_Lb0EEESK_SG_NS_23Merge_v2_magic_divisionINS5_IJiiiEEEEESN_NS_8RightPadIiiLb0EEESP_NS_7UnMergeISJ_Lb0EEESG_EEENS5_IJNS_8SequenceIJLi0EEEENST_IJLi1EEEENST_IJLi2EEEENST_IJLi3EEEENST_IJLi4EEEENST_IJLi5EEEENST_IJLi6EEEENST_IJLi7EEEENST_IJLi8EEEENST_IJLi9ELi11ELi13EEEENST_IJLi10ELi12ELi14EEEENST_IJLi15EEEENST_IJLi16EEEENST_IJLi18EEEENST_IJLi17EEEEEEENS5_IJNST_IJLi1ELi2ELi3ELi4EEEESZ_S10_S11_S12_NST_IJLi9EEEENST_IJLi10ELi11EEEENST_IJLi12ELi13EEEENST_IJLi14EEEES15_S16_S18_S17_NST_IJLi19ELi20EEEENST_IJLi21EEEEEEENST_IJLi19ELi21ELi20EEEElEENSB_INS5_IJSR_SP_SP_SR_SG_EEENS5_IJSU_SV_SW_SY_SX_EEENS5_IJNST_IJLi1ELi2EEEESX_SY_NST_IJLi5ELi6EEEES11_EEENST_IJLi5ELi7ELi6EEEElEENSB_INS5_IJSK_SP_SP_EEENS5_IJSU_SV_SW_EEENS5_IJS1M_SX_SY_EEENST_IJLi3ELi4EEEElEELi128ELi128ELi16ELi4ELi4ELi4ELi1ENST_IJLi8ELi2EEEES1W_NST_IJLi8ELi1ELi1ELi4EEEENST_IJLi2ELi1ELi128ELi1EEEENST_IJLi1ELi2ELi0ELi3EEEES1Z_NST_IJLi4ELi1ELi1ELi4EEEES1Z_NST_IJLi1ELi1ELi1ELi4EEEES1X_S1Y_S1Z_S1Z_S20_S1Z_S21_NST_IJLi0ELi1ELi2ELi3ELi4ELi5EEEELi5ELi4EEEaNS5_IJPKaEEEaS8_S8_S9_NSB_INS5_IJSE_SG_SI_SI_SG_SG_SK_SK_SG_SN_SN_SP_SP_SR_SG_SG_NSQ_INS5_IJiNS_17integral_constantIiLi128EEEEEELb0EEENSF_INS27_IiLi4EEEEEEEENS5_IJSU_SV_SW_SX_SY_SZ_S10_S11_S12_S13_S14_S15_S16_S17_S18_NST_IJLi19EEEES1G_NST_IJLi20EEEEEEENS5_IJS1A_SZ_S10_S11_S12_S1B_S1C_S1D_S1E_S15_S16_S18_S17_S1F_S1G_NST_IJLi22EEEENST_IJLi23ELi24EEEENST_IJLi25EEEEEEENST_IJLi22ELi23ELi24ELi25EEEElEENSB_INS5_IJSR_SP_SP_SR_SG_SG_S2A_S2C_EEENS5_IJSU_SV_SW_SY_SX_SZ_S11_S10_EEENS5_IJS1M_SX_SY_S1N_S11_S12_NST_IJLi9ELi10EEEENST_IJLi11EEEEEEENST_IJLi8ELi9ELi10ELi11EEEElEENS5_IJNSB_INS5_IJSK_SP_SP_NSQ_INS5_IJiNS27_IiLi2EEENS27_IiLi64EEEEEELb0EEES2X_EEENS5_IJSU_SV_SW_SX_SY_EEENS5_IJS1M_SX_SY_NST_IJLi5ELi6ELi7EEEENST_IJLi8ELi9ELi10EEEEEEENST_IJLi5ELi6ELi7ELi8ELi9ELi10EEEElEEEEES34_NS_31BlockToCTileMap_M00_N00_M01_N01ILi128ELi128ES1V_Lb0EEENS1_30ComputePtrOffsetOfStridedBatchILi1ELi1ELi1EvEELb0ELb0EEEvPKT0_S3C_T1_PT2_T3_T4_T5_iT6_T7_T8_T9_T10_T11_.kd
    .uniform_work_group_size: 1
    .uses_dynamic_stack: false
    .vgpr_count:     60
    .vgpr_spill_count: 0
    .wavefront_size: 64
  - .agpr_count:     0
    .args:
      - .address_space:  global
        .offset:         0
        .size:           8
        .value_kind:     global_buffer
      - .address_space:  global
        .offset:         8
        .size:           8
        .value_kind:     global_buffer
      - .address_space:  global
        .offset:         16
        .size:           8
        .value_kind:     global_buffer
      - .address_space:  global
        .offset:         24
        .size:           8
        .value_kind:     global_buffer
      - .offset:         32
        .size:           1
        .value_kind:     by_value
      - .offset:         33
        .size:           1
        .value_kind:     by_value
      - .offset:         34
        .size:           1
        .value_kind:     by_value
      - .offset:         36
        .size:           4
        .value_kind:     by_value
      - .offset:         40
        .size:           320
        .value_kind:     by_value
      - .offset:         360
        .size:           96
        .value_kind:     by_value
      - .offset:         456
        .size:           80
        .value_kind:     by_value
      - .offset:         536
        .size:           80
        .value_kind:     by_value
      - .offset:         616
        .size:           112
        .value_kind:     by_value
      - .offset:         728
        .size:           40
        .value_kind:     by_value
      - .offset:         768
        .size:           4
        .value_kind:     hidden_block_count_x
      - .offset:         772
        .size:           4
        .value_kind:     hidden_block_count_y
      - .offset:         776
        .size:           4
        .value_kind:     hidden_block_count_z
      - .offset:         780
        .size:           2
        .value_kind:     hidden_group_size_x
      - .offset:         782
        .size:           2
        .value_kind:     hidden_group_size_y
      - .offset:         784
        .size:           2
        .value_kind:     hidden_group_size_z
      - .offset:         786
        .size:           2
        .value_kind:     hidden_remainder_x
      - .offset:         788
        .size:           2
        .value_kind:     hidden_remainder_y
      - .offset:         790
        .size:           2
        .value_kind:     hidden_remainder_z
      - .offset:         808
        .size:           8
        .value_kind:     hidden_global_offset_x
      - .offset:         816
        .size:           8
        .value_kind:     hidden_global_offset_y
      - .offset:         824
        .size:           8
        .value_kind:     hidden_global_offset_z
      - .offset:         832
        .size:           2
        .value_kind:     hidden_grid_dims
    .group_segment_fixed_size: 32768
    .kernarg_segment_align: 8
    .kernarg_segment_size: 1024
    .language:       OpenCL C
    .language_version:
      - 2
      - 0
    .max_flat_workgroup_size: 256
    .name:           _ZN2ck16tensor_operation6device12_GLOBAL__N_137kernel_grouped_conv_fwd_dl_multiple_dINS_32GridwiseGemmDlMultipleD_km_kn_mnILi256EaiNS_5TupleIJaEEEaNS0_12element_wise11PassThroughES8_NS7_7AddReluELNS_25InMemoryDataOperationEnumE0ENS_16TensorDescriptorINS5_IJNS_5EmbedINS5_IJiiiiiEEESD_Lb0EEENS_11PassThroughIiEENS_3PadIiiiLb0EEESI_SI_SG_SG_NSC_INS5_IJiiEEESJ_Lb0EEESK_SK_SG_NS_23Merge_v2_magic_divisionINS5_IJiiiiEEEEESN_NS_8RightPadIiiLb0EEESP_NS_7UnMergeISJ_Lb0EEESG_EEENS5_IJNS_8SequenceIJLi0EEEENST_IJLi1EEEENST_IJLi2EEEENST_IJLi3EEEENST_IJLi4EEEENST_IJLi5EEEENST_IJLi6EEEENST_IJLi7EEEENST_IJLi8EEEENST_IJLi9EEEENST_IJLi10EEEENST_IJLi11ELi13ELi15ELi17EEEENST_IJLi12ELi14ELi16ELi18EEEENST_IJLi19EEEENST_IJLi20EEEENST_IJLi22EEEENST_IJLi21EEEEEEENS5_IJNST_IJLi1ELi2ELi3ELi4ELi5EEEES10_S11_S12_S13_S14_NST_IJLi11EEEENST_IJLi12ELi13EEEENST_IJLi14ELi15EEEENST_IJLi16ELi17EEEENST_IJLi18EEEES17_S18_S1A_S19_NST_IJLi23ELi24EEEENST_IJLi25EEEEEEENST_IJLi23ELi25ELi24EEEElEENSB_INS5_IJSR_SP_SP_SR_SG_EEENS5_IJSU_SV_SW_SY_SX_EEENS5_IJNST_IJLi1ELi2EEEESX_SY_NST_IJLi5ELi6EEEES11_EEENST_IJLi5ELi7ELi6EEEElEENSB_INS5_IJSK_SP_SP_EEENS5_IJSU_SV_SW_EEENS5_IJS1P_SX_SY_EEENST_IJLi3ELi4EEEElEELi128ELi128ELi16ELi4ELi4ELi4ELi1ENST_IJLi8ELi2EEEES1Z_NST_IJLi8ELi1ELi1ELi4EEEENST_IJLi2ELi1ELi128ELi1EEEENST_IJLi1ELi2ELi0ELi3EEEES22_NST_IJLi4ELi1ELi1ELi4EEEES22_NST_IJLi1ELi1ELi1ELi4EEEES20_S21_S22_S22_S23_S22_S24_NST_IJLi0ELi1ELi2ELi3ELi4ELi5EEEELi5ELi4EEEaNS5_IJPKaEEEaS8_S8_S9_NSB_INS5_IJSE_SG_SI_SI_SI_SG_SG_SK_SK_SK_SG_SN_SN_SP_SP_SR_SG_SG_NSQ_INS5_IJiNS_17integral_constantIiLi128EEEEEELb0EEENSF_INS2A_IiLi4EEEEEEEENS5_IJSU_SV_SW_SX_SY_SZ_S10_S11_S12_S13_S14_S15_S16_S17_S18_S19_S1A_NST_IJLi23EEEES1J_NST_IJLi24EEEEEEENS5_IJS1C_S10_S11_S12_S13_S14_S1D_S1E_S1F_S1G_S1H_S17_S18_S1A_S19_S1I_S1J_NST_IJLi26EEEENST_IJLi27ELi28EEEENST_IJLi29EEEEEEENST_IJLi26ELi27ELi28ELi29EEEElEENSB_INS5_IJSR_SP_SP_SR_SG_SG_S2D_S2F_EEENS5_IJSU_SV_SW_SY_SX_SZ_S11_S10_EEENS5_IJS1P_SX_SY_S1Q_S11_S12_NST_IJLi9ELi10EEEES1D_EEENST_IJLi8ELi9ELi10ELi11EEEElEENS5_IJNSB_INS5_IJSK_SP_SP_NSQ_INS5_IJiNS2A_IiLi2EEENS2A_IiLi64EEEEEELb0EEES2Z_EEENS5_IJSU_SV_SW_SX_SY_EEENS5_IJS1P_SX_SY_NST_IJLi5ELi6ELi7EEEENST_IJLi8ELi9ELi10EEEEEEENST_IJLi5ELi6ELi7ELi8ELi9ELi10EEEElEEEEES36_NS_31BlockToCTileMap_M00_N00_M01_N01ILi128ELi128ES1Y_Lb0EEENS1_30ComputePtrOffsetOfStridedBatchILi1ELi1ELi1EvEELb1ELb1EEEvPKT0_S3E_T1_PT2_T3_T4_T5_iT6_T7_T8_T9_T10_T11_
    .private_segment_fixed_size: 480
    .sgpr_count:     106
    .sgpr_spill_count: 14
    .symbol:         _ZN2ck16tensor_operation6device12_GLOBAL__N_137kernel_grouped_conv_fwd_dl_multiple_dINS_32GridwiseGemmDlMultipleD_km_kn_mnILi256EaiNS_5TupleIJaEEEaNS0_12element_wise11PassThroughES8_NS7_7AddReluELNS_25InMemoryDataOperationEnumE0ENS_16TensorDescriptorINS5_IJNS_5EmbedINS5_IJiiiiiEEESD_Lb0EEENS_11PassThroughIiEENS_3PadIiiiLb0EEESI_SI_SG_SG_NSC_INS5_IJiiEEESJ_Lb0EEESK_SK_SG_NS_23Merge_v2_magic_divisionINS5_IJiiiiEEEEESN_NS_8RightPadIiiLb0EEESP_NS_7UnMergeISJ_Lb0EEESG_EEENS5_IJNS_8SequenceIJLi0EEEENST_IJLi1EEEENST_IJLi2EEEENST_IJLi3EEEENST_IJLi4EEEENST_IJLi5EEEENST_IJLi6EEEENST_IJLi7EEEENST_IJLi8EEEENST_IJLi9EEEENST_IJLi10EEEENST_IJLi11ELi13ELi15ELi17EEEENST_IJLi12ELi14ELi16ELi18EEEENST_IJLi19EEEENST_IJLi20EEEENST_IJLi22EEEENST_IJLi21EEEEEEENS5_IJNST_IJLi1ELi2ELi3ELi4ELi5EEEES10_S11_S12_S13_S14_NST_IJLi11EEEENST_IJLi12ELi13EEEENST_IJLi14ELi15EEEENST_IJLi16ELi17EEEENST_IJLi18EEEES17_S18_S1A_S19_NST_IJLi23ELi24EEEENST_IJLi25EEEEEEENST_IJLi23ELi25ELi24EEEElEENSB_INS5_IJSR_SP_SP_SR_SG_EEENS5_IJSU_SV_SW_SY_SX_EEENS5_IJNST_IJLi1ELi2EEEESX_SY_NST_IJLi5ELi6EEEES11_EEENST_IJLi5ELi7ELi6EEEElEENSB_INS5_IJSK_SP_SP_EEENS5_IJSU_SV_SW_EEENS5_IJS1P_SX_SY_EEENST_IJLi3ELi4EEEElEELi128ELi128ELi16ELi4ELi4ELi4ELi1ENST_IJLi8ELi2EEEES1Z_NST_IJLi8ELi1ELi1ELi4EEEENST_IJLi2ELi1ELi128ELi1EEEENST_IJLi1ELi2ELi0ELi3EEEES22_NST_IJLi4ELi1ELi1ELi4EEEES22_NST_IJLi1ELi1ELi1ELi4EEEES20_S21_S22_S22_S23_S22_S24_NST_IJLi0ELi1ELi2ELi3ELi4ELi5EEEELi5ELi4EEEaNS5_IJPKaEEEaS8_S8_S9_NSB_INS5_IJSE_SG_SI_SI_SI_SG_SG_SK_SK_SK_SG_SN_SN_SP_SP_SR_SG_SG_NSQ_INS5_IJiNS_17integral_constantIiLi128EEEEEELb0EEENSF_INS2A_IiLi4EEEEEEEENS5_IJSU_SV_SW_SX_SY_SZ_S10_S11_S12_S13_S14_S15_S16_S17_S18_S19_S1A_NST_IJLi23EEEES1J_NST_IJLi24EEEEEEENS5_IJS1C_S10_S11_S12_S13_S14_S1D_S1E_S1F_S1G_S1H_S17_S18_S1A_S19_S1I_S1J_NST_IJLi26EEEENST_IJLi27ELi28EEEENST_IJLi29EEEEEEENST_IJLi26ELi27ELi28ELi29EEEElEENSB_INS5_IJSR_SP_SP_SR_SG_SG_S2D_S2F_EEENS5_IJSU_SV_SW_SY_SX_SZ_S11_S10_EEENS5_IJS1P_SX_SY_S1Q_S11_S12_NST_IJLi9ELi10EEEES1D_EEENST_IJLi8ELi9ELi10ELi11EEEElEENS5_IJNSB_INS5_IJSK_SP_SP_NSQ_INS5_IJiNS2A_IiLi2EEENS2A_IiLi64EEEEEELb0EEES2Z_EEENS5_IJSU_SV_SW_SX_SY_EEENS5_IJS1P_SX_SY_NST_IJLi5ELi6ELi7EEEENST_IJLi8ELi9ELi10EEEEEEENST_IJLi5ELi6ELi7ELi8ELi9ELi10EEEElEEEEES36_NS_31BlockToCTileMap_M00_N00_M01_N01ILi128ELi128ES1Y_Lb0EEENS1_30ComputePtrOffsetOfStridedBatchILi1ELi1ELi1EvEELb1ELb1EEEvPKT0_S3E_T1_PT2_T3_T4_T5_iT6_T7_T8_T9_T10_T11_.kd
    .uniform_work_group_size: 1
    .uses_dynamic_stack: false
    .vgpr_count:     91
    .vgpr_spill_count: 0
    .wavefront_size: 64
  - .agpr_count:     0
    .args:
      - .address_space:  global
        .offset:         0
        .size:           8
        .value_kind:     global_buffer
      - .address_space:  global
        .offset:         8
        .size:           8
        .value_kind:     global_buffer
      - .address_space:  global
        .offset:         16
        .size:           8
        .value_kind:     global_buffer
      - .address_space:  global
        .offset:         24
        .size:           8
        .value_kind:     global_buffer
      - .offset:         32
        .size:           1
        .value_kind:     by_value
      - .offset:         33
        .size:           1
        .value_kind:     by_value
      - .offset:         34
        .size:           1
        .value_kind:     by_value
      - .offset:         36
        .size:           4
        .value_kind:     by_value
      - .offset:         40
        .size:           320
        .value_kind:     by_value
      - .offset:         360
        .size:           96
        .value_kind:     by_value
      - .offset:         456
        .size:           80
        .value_kind:     by_value
      - .offset:         536
        .size:           80
        .value_kind:     by_value
      - .offset:         616
        .size:           112
        .value_kind:     by_value
      - .offset:         728
        .size:           40
        .value_kind:     by_value
      - .offset:         768
        .size:           4
        .value_kind:     hidden_block_count_x
      - .offset:         772
        .size:           4
        .value_kind:     hidden_block_count_y
      - .offset:         776
        .size:           4
        .value_kind:     hidden_block_count_z
      - .offset:         780
        .size:           2
        .value_kind:     hidden_group_size_x
      - .offset:         782
        .size:           2
        .value_kind:     hidden_group_size_y
      - .offset:         784
        .size:           2
        .value_kind:     hidden_group_size_z
      - .offset:         786
        .size:           2
        .value_kind:     hidden_remainder_x
      - .offset:         788
        .size:           2
        .value_kind:     hidden_remainder_y
      - .offset:         790
        .size:           2
        .value_kind:     hidden_remainder_z
      - .offset:         808
        .size:           8
        .value_kind:     hidden_global_offset_x
      - .offset:         816
        .size:           8
        .value_kind:     hidden_global_offset_y
      - .offset:         824
        .size:           8
        .value_kind:     hidden_global_offset_z
      - .offset:         832
        .size:           2
        .value_kind:     hidden_grid_dims
    .group_segment_fixed_size: 32768
    .kernarg_segment_align: 8
    .kernarg_segment_size: 1024
    .language:       OpenCL C
    .language_version:
      - 2
      - 0
    .max_flat_workgroup_size: 256
    .name:           _ZN2ck16tensor_operation6device12_GLOBAL__N_137kernel_grouped_conv_fwd_dl_multiple_dINS_32GridwiseGemmDlMultipleD_km_kn_mnILi256EaiNS_5TupleIJaEEEaNS0_12element_wise11PassThroughES8_NS7_7AddReluELNS_25InMemoryDataOperationEnumE0ENS_16TensorDescriptorINS5_IJNS_5EmbedINS5_IJiiiiiEEESD_Lb0EEENS_11PassThroughIiEENS_3PadIiiiLb0EEESI_SI_SG_SG_NSC_INS5_IJiiEEESJ_Lb0EEESK_SK_SG_NS_23Merge_v2_magic_divisionINS5_IJiiiiEEEEESN_NS_8RightPadIiiLb0EEESP_NS_7UnMergeISJ_Lb0EEESG_EEENS5_IJNS_8SequenceIJLi0EEEENST_IJLi1EEEENST_IJLi2EEEENST_IJLi3EEEENST_IJLi4EEEENST_IJLi5EEEENST_IJLi6EEEENST_IJLi7EEEENST_IJLi8EEEENST_IJLi9EEEENST_IJLi10EEEENST_IJLi11ELi13ELi15ELi17EEEENST_IJLi12ELi14ELi16ELi18EEEENST_IJLi19EEEENST_IJLi20EEEENST_IJLi22EEEENST_IJLi21EEEEEEENS5_IJNST_IJLi1ELi2ELi3ELi4ELi5EEEES10_S11_S12_S13_S14_NST_IJLi11EEEENST_IJLi12ELi13EEEENST_IJLi14ELi15EEEENST_IJLi16ELi17EEEENST_IJLi18EEEES17_S18_S1A_S19_NST_IJLi23ELi24EEEENST_IJLi25EEEEEEENST_IJLi23ELi25ELi24EEEElEENSB_INS5_IJSR_SP_SP_SR_SG_EEENS5_IJSU_SV_SW_SY_SX_EEENS5_IJNST_IJLi1ELi2EEEESX_SY_NST_IJLi5ELi6EEEES11_EEENST_IJLi5ELi7ELi6EEEElEENSB_INS5_IJSK_SP_SP_EEENS5_IJSU_SV_SW_EEENS5_IJS1P_SX_SY_EEENST_IJLi3ELi4EEEElEELi128ELi128ELi16ELi4ELi4ELi4ELi1ENST_IJLi8ELi2EEEES1Z_NST_IJLi8ELi1ELi1ELi4EEEENST_IJLi2ELi1ELi128ELi1EEEENST_IJLi1ELi2ELi0ELi3EEEES22_NST_IJLi4ELi1ELi1ELi4EEEES22_NST_IJLi1ELi1ELi1ELi4EEEES20_S21_S22_S22_S23_S22_S24_NST_IJLi0ELi1ELi2ELi3ELi4ELi5EEEELi5ELi4EEEaNS5_IJPKaEEEaS8_S8_S9_NSB_INS5_IJSE_SG_SI_SI_SI_SG_SG_SK_SK_SK_SG_SN_SN_SP_SP_SR_SG_SG_NSQ_INS5_IJiNS_17integral_constantIiLi128EEEEEELb0EEENSF_INS2A_IiLi4EEEEEEEENS5_IJSU_SV_SW_SX_SY_SZ_S10_S11_S12_S13_S14_S15_S16_S17_S18_S19_S1A_NST_IJLi23EEEES1J_NST_IJLi24EEEEEEENS5_IJS1C_S10_S11_S12_S13_S14_S1D_S1E_S1F_S1G_S1H_S17_S18_S1A_S19_S1I_S1J_NST_IJLi26EEEENST_IJLi27ELi28EEEENST_IJLi29EEEEEEENST_IJLi26ELi27ELi28ELi29EEEElEENSB_INS5_IJSR_SP_SP_SR_SG_SG_S2D_S2F_EEENS5_IJSU_SV_SW_SY_SX_SZ_S11_S10_EEENS5_IJS1P_SX_SY_S1Q_S11_S12_NST_IJLi9ELi10EEEES1D_EEENST_IJLi8ELi9ELi10ELi11EEEElEENS5_IJNSB_INS5_IJSK_SP_SP_NSQ_INS5_IJiNS2A_IiLi2EEENS2A_IiLi64EEEEEELb0EEES2Z_EEENS5_IJSU_SV_SW_SX_SY_EEENS5_IJS1P_SX_SY_NST_IJLi5ELi6ELi7EEEENST_IJLi8ELi9ELi10EEEEEEENST_IJLi5ELi6ELi7ELi8ELi9ELi10EEEElEEEEES36_NS_31BlockToCTileMap_M00_N00_M01_N01ILi128ELi128ES1Y_Lb0EEENS1_30ComputePtrOffsetOfStridedBatchILi1ELi1ELi1EvEELb1ELb0EEEvPKT0_S3E_T1_PT2_T3_T4_T5_iT6_T7_T8_T9_T10_T11_
    .private_segment_fixed_size: 480
    .sgpr_count:     106
    .sgpr_spill_count: 1
    .symbol:         _ZN2ck16tensor_operation6device12_GLOBAL__N_137kernel_grouped_conv_fwd_dl_multiple_dINS_32GridwiseGemmDlMultipleD_km_kn_mnILi256EaiNS_5TupleIJaEEEaNS0_12element_wise11PassThroughES8_NS7_7AddReluELNS_25InMemoryDataOperationEnumE0ENS_16TensorDescriptorINS5_IJNS_5EmbedINS5_IJiiiiiEEESD_Lb0EEENS_11PassThroughIiEENS_3PadIiiiLb0EEESI_SI_SG_SG_NSC_INS5_IJiiEEESJ_Lb0EEESK_SK_SG_NS_23Merge_v2_magic_divisionINS5_IJiiiiEEEEESN_NS_8RightPadIiiLb0EEESP_NS_7UnMergeISJ_Lb0EEESG_EEENS5_IJNS_8SequenceIJLi0EEEENST_IJLi1EEEENST_IJLi2EEEENST_IJLi3EEEENST_IJLi4EEEENST_IJLi5EEEENST_IJLi6EEEENST_IJLi7EEEENST_IJLi8EEEENST_IJLi9EEEENST_IJLi10EEEENST_IJLi11ELi13ELi15ELi17EEEENST_IJLi12ELi14ELi16ELi18EEEENST_IJLi19EEEENST_IJLi20EEEENST_IJLi22EEEENST_IJLi21EEEEEEENS5_IJNST_IJLi1ELi2ELi3ELi4ELi5EEEES10_S11_S12_S13_S14_NST_IJLi11EEEENST_IJLi12ELi13EEEENST_IJLi14ELi15EEEENST_IJLi16ELi17EEEENST_IJLi18EEEES17_S18_S1A_S19_NST_IJLi23ELi24EEEENST_IJLi25EEEEEEENST_IJLi23ELi25ELi24EEEElEENSB_INS5_IJSR_SP_SP_SR_SG_EEENS5_IJSU_SV_SW_SY_SX_EEENS5_IJNST_IJLi1ELi2EEEESX_SY_NST_IJLi5ELi6EEEES11_EEENST_IJLi5ELi7ELi6EEEElEENSB_INS5_IJSK_SP_SP_EEENS5_IJSU_SV_SW_EEENS5_IJS1P_SX_SY_EEENST_IJLi3ELi4EEEElEELi128ELi128ELi16ELi4ELi4ELi4ELi1ENST_IJLi8ELi2EEEES1Z_NST_IJLi8ELi1ELi1ELi4EEEENST_IJLi2ELi1ELi128ELi1EEEENST_IJLi1ELi2ELi0ELi3EEEES22_NST_IJLi4ELi1ELi1ELi4EEEES22_NST_IJLi1ELi1ELi1ELi4EEEES20_S21_S22_S22_S23_S22_S24_NST_IJLi0ELi1ELi2ELi3ELi4ELi5EEEELi5ELi4EEEaNS5_IJPKaEEEaS8_S8_S9_NSB_INS5_IJSE_SG_SI_SI_SI_SG_SG_SK_SK_SK_SG_SN_SN_SP_SP_SR_SG_SG_NSQ_INS5_IJiNS_17integral_constantIiLi128EEEEEELb0EEENSF_INS2A_IiLi4EEEEEEEENS5_IJSU_SV_SW_SX_SY_SZ_S10_S11_S12_S13_S14_S15_S16_S17_S18_S19_S1A_NST_IJLi23EEEES1J_NST_IJLi24EEEEEEENS5_IJS1C_S10_S11_S12_S13_S14_S1D_S1E_S1F_S1G_S1H_S17_S18_S1A_S19_S1I_S1J_NST_IJLi26EEEENST_IJLi27ELi28EEEENST_IJLi29EEEEEEENST_IJLi26ELi27ELi28ELi29EEEElEENSB_INS5_IJSR_SP_SP_SR_SG_SG_S2D_S2F_EEENS5_IJSU_SV_SW_SY_SX_SZ_S11_S10_EEENS5_IJS1P_SX_SY_S1Q_S11_S12_NST_IJLi9ELi10EEEES1D_EEENST_IJLi8ELi9ELi10ELi11EEEElEENS5_IJNSB_INS5_IJSK_SP_SP_NSQ_INS5_IJiNS2A_IiLi2EEENS2A_IiLi64EEEEEELb0EEES2Z_EEENS5_IJSU_SV_SW_SX_SY_EEENS5_IJS1P_SX_SY_NST_IJLi5ELi6ELi7EEEENST_IJLi8ELi9ELi10EEEEEEENST_IJLi5ELi6ELi7ELi8ELi9ELi10EEEElEEEEES36_NS_31BlockToCTileMap_M00_N00_M01_N01ILi128ELi128ES1Y_Lb0EEENS1_30ComputePtrOffsetOfStridedBatchILi1ELi1ELi1EvEELb1ELb0EEEvPKT0_S3E_T1_PT2_T3_T4_T5_iT6_T7_T8_T9_T10_T11_.kd
    .uniform_work_group_size: 1
    .uses_dynamic_stack: false
    .vgpr_count:     89
    .vgpr_spill_count: 0
    .wavefront_size: 64
  - .agpr_count:     0
    .args:
      - .address_space:  global
        .offset:         0
        .size:           8
        .value_kind:     global_buffer
      - .address_space:  global
        .offset:         8
        .size:           8
        .value_kind:     global_buffer
      - .address_space:  global
        .offset:         16
        .size:           8
        .value_kind:     global_buffer
      - .address_space:  global
        .offset:         24
        .size:           8
        .value_kind:     global_buffer
      - .offset:         32
        .size:           1
        .value_kind:     by_value
      - .offset:         33
        .size:           1
        .value_kind:     by_value
      - .offset:         34
        .size:           1
        .value_kind:     by_value
      - .offset:         36
        .size:           4
        .value_kind:     by_value
      - .offset:         40
        .size:           320
        .value_kind:     by_value
      - .offset:         360
        .size:           96
        .value_kind:     by_value
      - .offset:         456
        .size:           80
        .value_kind:     by_value
      - .offset:         536
        .size:           80
        .value_kind:     by_value
      - .offset:         616
        .size:           112
        .value_kind:     by_value
      - .offset:         728
        .size:           40
        .value_kind:     by_value
      - .offset:         768
        .size:           4
        .value_kind:     hidden_block_count_x
      - .offset:         772
        .size:           4
        .value_kind:     hidden_block_count_y
      - .offset:         776
        .size:           4
        .value_kind:     hidden_block_count_z
      - .offset:         780
        .size:           2
        .value_kind:     hidden_group_size_x
      - .offset:         782
        .size:           2
        .value_kind:     hidden_group_size_y
      - .offset:         784
        .size:           2
        .value_kind:     hidden_group_size_z
      - .offset:         786
        .size:           2
        .value_kind:     hidden_remainder_x
      - .offset:         788
        .size:           2
        .value_kind:     hidden_remainder_y
      - .offset:         790
        .size:           2
        .value_kind:     hidden_remainder_z
      - .offset:         808
        .size:           8
        .value_kind:     hidden_global_offset_x
      - .offset:         816
        .size:           8
        .value_kind:     hidden_global_offset_y
      - .offset:         824
        .size:           8
        .value_kind:     hidden_global_offset_z
      - .offset:         832
        .size:           2
        .value_kind:     hidden_grid_dims
    .group_segment_fixed_size: 32768
    .kernarg_segment_align: 8
    .kernarg_segment_size: 1024
    .language:       OpenCL C
    .language_version:
      - 2
      - 0
    .max_flat_workgroup_size: 256
    .name:           _ZN2ck16tensor_operation6device12_GLOBAL__N_137kernel_grouped_conv_fwd_dl_multiple_dINS_32GridwiseGemmDlMultipleD_km_kn_mnILi256EaiNS_5TupleIJaEEEaNS0_12element_wise11PassThroughES8_NS7_7AddReluELNS_25InMemoryDataOperationEnumE0ENS_16TensorDescriptorINS5_IJNS_5EmbedINS5_IJiiiiiEEESD_Lb0EEENS_11PassThroughIiEENS_3PadIiiiLb0EEESI_SI_SG_SG_NSC_INS5_IJiiEEESJ_Lb0EEESK_SK_SG_NS_23Merge_v2_magic_divisionINS5_IJiiiiEEEEESN_NS_8RightPadIiiLb0EEESP_NS_7UnMergeISJ_Lb0EEESG_EEENS5_IJNS_8SequenceIJLi0EEEENST_IJLi1EEEENST_IJLi2EEEENST_IJLi3EEEENST_IJLi4EEEENST_IJLi5EEEENST_IJLi6EEEENST_IJLi7EEEENST_IJLi8EEEENST_IJLi9EEEENST_IJLi10EEEENST_IJLi11ELi13ELi15ELi17EEEENST_IJLi12ELi14ELi16ELi18EEEENST_IJLi19EEEENST_IJLi20EEEENST_IJLi22EEEENST_IJLi21EEEEEEENS5_IJNST_IJLi1ELi2ELi3ELi4ELi5EEEES10_S11_S12_S13_S14_NST_IJLi11EEEENST_IJLi12ELi13EEEENST_IJLi14ELi15EEEENST_IJLi16ELi17EEEENST_IJLi18EEEES17_S18_S1A_S19_NST_IJLi23ELi24EEEENST_IJLi25EEEEEEENST_IJLi23ELi25ELi24EEEElEENSB_INS5_IJSR_SP_SP_SR_SG_EEENS5_IJSU_SV_SW_SY_SX_EEENS5_IJNST_IJLi1ELi2EEEESX_SY_NST_IJLi5ELi6EEEES11_EEENST_IJLi5ELi7ELi6EEEElEENSB_INS5_IJSK_SP_SP_EEENS5_IJSU_SV_SW_EEENS5_IJS1P_SX_SY_EEENST_IJLi3ELi4EEEElEELi128ELi128ELi16ELi4ELi4ELi4ELi1ENST_IJLi8ELi2EEEES1Z_NST_IJLi8ELi1ELi1ELi4EEEENST_IJLi2ELi1ELi128ELi1EEEENST_IJLi1ELi2ELi0ELi3EEEES22_NST_IJLi4ELi1ELi1ELi4EEEES22_NST_IJLi1ELi1ELi1ELi4EEEES20_S21_S22_S22_S23_S22_S24_NST_IJLi0ELi1ELi2ELi3ELi4ELi5EEEELi5ELi4EEEaNS5_IJPKaEEEaS8_S8_S9_NSB_INS5_IJSE_SG_SI_SI_SI_SG_SG_SK_SK_SK_SG_SN_SN_SP_SP_SR_SG_SG_NSQ_INS5_IJiNS_17integral_constantIiLi128EEEEEELb0EEENSF_INS2A_IiLi4EEEEEEEENS5_IJSU_SV_SW_SX_SY_SZ_S10_S11_S12_S13_S14_S15_S16_S17_S18_S19_S1A_NST_IJLi23EEEES1J_NST_IJLi24EEEEEEENS5_IJS1C_S10_S11_S12_S13_S14_S1D_S1E_S1F_S1G_S1H_S17_S18_S1A_S19_S1I_S1J_NST_IJLi26EEEENST_IJLi27ELi28EEEENST_IJLi29EEEEEEENST_IJLi26ELi27ELi28ELi29EEEElEENSB_INS5_IJSR_SP_SP_SR_SG_SG_S2D_S2F_EEENS5_IJSU_SV_SW_SY_SX_SZ_S11_S10_EEENS5_IJS1P_SX_SY_S1Q_S11_S12_NST_IJLi9ELi10EEEES1D_EEENST_IJLi8ELi9ELi10ELi11EEEElEENS5_IJNSB_INS5_IJSK_SP_SP_NSQ_INS5_IJiNS2A_IiLi2EEENS2A_IiLi64EEEEEELb0EEES2Z_EEENS5_IJSU_SV_SW_SX_SY_EEENS5_IJS1P_SX_SY_NST_IJLi5ELi6ELi7EEEENST_IJLi8ELi9ELi10EEEEEEENST_IJLi5ELi6ELi7ELi8ELi9ELi10EEEElEEEEES36_NS_31BlockToCTileMap_M00_N00_M01_N01ILi128ELi128ES1Y_Lb0EEENS1_30ComputePtrOffsetOfStridedBatchILi1ELi1ELi1EvEELb0ELb1EEEvPKT0_S3E_T1_PT2_T3_T4_T5_iT6_T7_T8_T9_T10_T11_
    .private_segment_fixed_size: 480
    .sgpr_count:     94
    .sgpr_spill_count: 0
    .symbol:         _ZN2ck16tensor_operation6device12_GLOBAL__N_137kernel_grouped_conv_fwd_dl_multiple_dINS_32GridwiseGemmDlMultipleD_km_kn_mnILi256EaiNS_5TupleIJaEEEaNS0_12element_wise11PassThroughES8_NS7_7AddReluELNS_25InMemoryDataOperationEnumE0ENS_16TensorDescriptorINS5_IJNS_5EmbedINS5_IJiiiiiEEESD_Lb0EEENS_11PassThroughIiEENS_3PadIiiiLb0EEESI_SI_SG_SG_NSC_INS5_IJiiEEESJ_Lb0EEESK_SK_SG_NS_23Merge_v2_magic_divisionINS5_IJiiiiEEEEESN_NS_8RightPadIiiLb0EEESP_NS_7UnMergeISJ_Lb0EEESG_EEENS5_IJNS_8SequenceIJLi0EEEENST_IJLi1EEEENST_IJLi2EEEENST_IJLi3EEEENST_IJLi4EEEENST_IJLi5EEEENST_IJLi6EEEENST_IJLi7EEEENST_IJLi8EEEENST_IJLi9EEEENST_IJLi10EEEENST_IJLi11ELi13ELi15ELi17EEEENST_IJLi12ELi14ELi16ELi18EEEENST_IJLi19EEEENST_IJLi20EEEENST_IJLi22EEEENST_IJLi21EEEEEEENS5_IJNST_IJLi1ELi2ELi3ELi4ELi5EEEES10_S11_S12_S13_S14_NST_IJLi11EEEENST_IJLi12ELi13EEEENST_IJLi14ELi15EEEENST_IJLi16ELi17EEEENST_IJLi18EEEES17_S18_S1A_S19_NST_IJLi23ELi24EEEENST_IJLi25EEEEEEENST_IJLi23ELi25ELi24EEEElEENSB_INS5_IJSR_SP_SP_SR_SG_EEENS5_IJSU_SV_SW_SY_SX_EEENS5_IJNST_IJLi1ELi2EEEESX_SY_NST_IJLi5ELi6EEEES11_EEENST_IJLi5ELi7ELi6EEEElEENSB_INS5_IJSK_SP_SP_EEENS5_IJSU_SV_SW_EEENS5_IJS1P_SX_SY_EEENST_IJLi3ELi4EEEElEELi128ELi128ELi16ELi4ELi4ELi4ELi1ENST_IJLi8ELi2EEEES1Z_NST_IJLi8ELi1ELi1ELi4EEEENST_IJLi2ELi1ELi128ELi1EEEENST_IJLi1ELi2ELi0ELi3EEEES22_NST_IJLi4ELi1ELi1ELi4EEEES22_NST_IJLi1ELi1ELi1ELi4EEEES20_S21_S22_S22_S23_S22_S24_NST_IJLi0ELi1ELi2ELi3ELi4ELi5EEEELi5ELi4EEEaNS5_IJPKaEEEaS8_S8_S9_NSB_INS5_IJSE_SG_SI_SI_SI_SG_SG_SK_SK_SK_SG_SN_SN_SP_SP_SR_SG_SG_NSQ_INS5_IJiNS_17integral_constantIiLi128EEEEEELb0EEENSF_INS2A_IiLi4EEEEEEEENS5_IJSU_SV_SW_SX_SY_SZ_S10_S11_S12_S13_S14_S15_S16_S17_S18_S19_S1A_NST_IJLi23EEEES1J_NST_IJLi24EEEEEEENS5_IJS1C_S10_S11_S12_S13_S14_S1D_S1E_S1F_S1G_S1H_S17_S18_S1A_S19_S1I_S1J_NST_IJLi26EEEENST_IJLi27ELi28EEEENST_IJLi29EEEEEEENST_IJLi26ELi27ELi28ELi29EEEElEENSB_INS5_IJSR_SP_SP_SR_SG_SG_S2D_S2F_EEENS5_IJSU_SV_SW_SY_SX_SZ_S11_S10_EEENS5_IJS1P_SX_SY_S1Q_S11_S12_NST_IJLi9ELi10EEEES1D_EEENST_IJLi8ELi9ELi10ELi11EEEElEENS5_IJNSB_INS5_IJSK_SP_SP_NSQ_INS5_IJiNS2A_IiLi2EEENS2A_IiLi64EEEEEELb0EEES2Z_EEENS5_IJSU_SV_SW_SX_SY_EEENS5_IJS1P_SX_SY_NST_IJLi5ELi6ELi7EEEENST_IJLi8ELi9ELi10EEEEEEENST_IJLi5ELi6ELi7ELi8ELi9ELi10EEEElEEEEES36_NS_31BlockToCTileMap_M00_N00_M01_N01ILi128ELi128ES1Y_Lb0EEENS1_30ComputePtrOffsetOfStridedBatchILi1ELi1ELi1EvEELb0ELb1EEEvPKT0_S3E_T1_PT2_T3_T4_T5_iT6_T7_T8_T9_T10_T11_.kd
    .uniform_work_group_size: 1
    .uses_dynamic_stack: false
    .vgpr_count:     74
    .vgpr_spill_count: 0
    .wavefront_size: 64
  - .agpr_count:     0
    .args:
      - .address_space:  global
        .offset:         0
        .size:           8
        .value_kind:     global_buffer
      - .address_space:  global
        .offset:         8
        .size:           8
        .value_kind:     global_buffer
      - .address_space:  global
        .offset:         16
        .size:           8
        .value_kind:     global_buffer
      - .address_space:  global
        .offset:         24
        .size:           8
        .value_kind:     global_buffer
      - .offset:         32
        .size:           1
        .value_kind:     by_value
      - .offset:         33
        .size:           1
        .value_kind:     by_value
      - .offset:         34
        .size:           1
        .value_kind:     by_value
      - .offset:         36
        .size:           4
        .value_kind:     by_value
      - .offset:         40
        .size:           320
        .value_kind:     by_value
      - .offset:         360
        .size:           96
        .value_kind:     by_value
      - .offset:         456
        .size:           80
        .value_kind:     by_value
      - .offset:         536
        .size:           80
        .value_kind:     by_value
      - .offset:         616
        .size:           112
        .value_kind:     by_value
      - .offset:         728
        .size:           40
        .value_kind:     by_value
      - .offset:         768
        .size:           4
        .value_kind:     hidden_block_count_x
      - .offset:         772
        .size:           4
        .value_kind:     hidden_block_count_y
      - .offset:         776
        .size:           4
        .value_kind:     hidden_block_count_z
      - .offset:         780
        .size:           2
        .value_kind:     hidden_group_size_x
      - .offset:         782
        .size:           2
        .value_kind:     hidden_group_size_y
      - .offset:         784
        .size:           2
        .value_kind:     hidden_group_size_z
      - .offset:         786
        .size:           2
        .value_kind:     hidden_remainder_x
      - .offset:         788
        .size:           2
        .value_kind:     hidden_remainder_y
      - .offset:         790
        .size:           2
        .value_kind:     hidden_remainder_z
      - .offset:         808
        .size:           8
        .value_kind:     hidden_global_offset_x
      - .offset:         816
        .size:           8
        .value_kind:     hidden_global_offset_y
      - .offset:         824
        .size:           8
        .value_kind:     hidden_global_offset_z
      - .offset:         832
        .size:           2
        .value_kind:     hidden_grid_dims
    .group_segment_fixed_size: 32768
    .kernarg_segment_align: 8
    .kernarg_segment_size: 1024
    .language:       OpenCL C
    .language_version:
      - 2
      - 0
    .max_flat_workgroup_size: 256
    .name:           _ZN2ck16tensor_operation6device12_GLOBAL__N_137kernel_grouped_conv_fwd_dl_multiple_dINS_32GridwiseGemmDlMultipleD_km_kn_mnILi256EaiNS_5TupleIJaEEEaNS0_12element_wise11PassThroughES8_NS7_7AddReluELNS_25InMemoryDataOperationEnumE0ENS_16TensorDescriptorINS5_IJNS_5EmbedINS5_IJiiiiiEEESD_Lb0EEENS_11PassThroughIiEENS_3PadIiiiLb0EEESI_SI_SG_SG_NSC_INS5_IJiiEEESJ_Lb0EEESK_SK_SG_NS_23Merge_v2_magic_divisionINS5_IJiiiiEEEEESN_NS_8RightPadIiiLb0EEESP_NS_7UnMergeISJ_Lb0EEESG_EEENS5_IJNS_8SequenceIJLi0EEEENST_IJLi1EEEENST_IJLi2EEEENST_IJLi3EEEENST_IJLi4EEEENST_IJLi5EEEENST_IJLi6EEEENST_IJLi7EEEENST_IJLi8EEEENST_IJLi9EEEENST_IJLi10EEEENST_IJLi11ELi13ELi15ELi17EEEENST_IJLi12ELi14ELi16ELi18EEEENST_IJLi19EEEENST_IJLi20EEEENST_IJLi22EEEENST_IJLi21EEEEEEENS5_IJNST_IJLi1ELi2ELi3ELi4ELi5EEEES10_S11_S12_S13_S14_NST_IJLi11EEEENST_IJLi12ELi13EEEENST_IJLi14ELi15EEEENST_IJLi16ELi17EEEENST_IJLi18EEEES17_S18_S1A_S19_NST_IJLi23ELi24EEEENST_IJLi25EEEEEEENST_IJLi23ELi25ELi24EEEElEENSB_INS5_IJSR_SP_SP_SR_SG_EEENS5_IJSU_SV_SW_SY_SX_EEENS5_IJNST_IJLi1ELi2EEEESX_SY_NST_IJLi5ELi6EEEES11_EEENST_IJLi5ELi7ELi6EEEElEENSB_INS5_IJSK_SP_SP_EEENS5_IJSU_SV_SW_EEENS5_IJS1P_SX_SY_EEENST_IJLi3ELi4EEEElEELi128ELi128ELi16ELi4ELi4ELi4ELi1ENST_IJLi8ELi2EEEES1Z_NST_IJLi8ELi1ELi1ELi4EEEENST_IJLi2ELi1ELi128ELi1EEEENST_IJLi1ELi2ELi0ELi3EEEES22_NST_IJLi4ELi1ELi1ELi4EEEES22_NST_IJLi1ELi1ELi1ELi4EEEES20_S21_S22_S22_S23_S22_S24_NST_IJLi0ELi1ELi2ELi3ELi4ELi5EEEELi5ELi4EEEaNS5_IJPKaEEEaS8_S8_S9_NSB_INS5_IJSE_SG_SI_SI_SI_SG_SG_SK_SK_SK_SG_SN_SN_SP_SP_SR_SG_SG_NSQ_INS5_IJiNS_17integral_constantIiLi128EEEEEELb0EEENSF_INS2A_IiLi4EEEEEEEENS5_IJSU_SV_SW_SX_SY_SZ_S10_S11_S12_S13_S14_S15_S16_S17_S18_S19_S1A_NST_IJLi23EEEES1J_NST_IJLi24EEEEEEENS5_IJS1C_S10_S11_S12_S13_S14_S1D_S1E_S1F_S1G_S1H_S17_S18_S1A_S19_S1I_S1J_NST_IJLi26EEEENST_IJLi27ELi28EEEENST_IJLi29EEEEEEENST_IJLi26ELi27ELi28ELi29EEEElEENSB_INS5_IJSR_SP_SP_SR_SG_SG_S2D_S2F_EEENS5_IJSU_SV_SW_SY_SX_SZ_S11_S10_EEENS5_IJS1P_SX_SY_S1Q_S11_S12_NST_IJLi9ELi10EEEES1D_EEENST_IJLi8ELi9ELi10ELi11EEEElEENS5_IJNSB_INS5_IJSK_SP_SP_NSQ_INS5_IJiNS2A_IiLi2EEENS2A_IiLi64EEEEEELb0EEES2Z_EEENS5_IJSU_SV_SW_SX_SY_EEENS5_IJS1P_SX_SY_NST_IJLi5ELi6ELi7EEEENST_IJLi8ELi9ELi10EEEEEEENST_IJLi5ELi6ELi7ELi8ELi9ELi10EEEElEEEEES36_NS_31BlockToCTileMap_M00_N00_M01_N01ILi128ELi128ES1Y_Lb0EEENS1_30ComputePtrOffsetOfStridedBatchILi1ELi1ELi1EvEELb0ELb0EEEvPKT0_S3E_T1_PT2_T3_T4_T5_iT6_T7_T8_T9_T10_T11_
    .private_segment_fixed_size: 448
    .sgpr_count:     90
    .sgpr_spill_count: 0
    .symbol:         _ZN2ck16tensor_operation6device12_GLOBAL__N_137kernel_grouped_conv_fwd_dl_multiple_dINS_32GridwiseGemmDlMultipleD_km_kn_mnILi256EaiNS_5TupleIJaEEEaNS0_12element_wise11PassThroughES8_NS7_7AddReluELNS_25InMemoryDataOperationEnumE0ENS_16TensorDescriptorINS5_IJNS_5EmbedINS5_IJiiiiiEEESD_Lb0EEENS_11PassThroughIiEENS_3PadIiiiLb0EEESI_SI_SG_SG_NSC_INS5_IJiiEEESJ_Lb0EEESK_SK_SG_NS_23Merge_v2_magic_divisionINS5_IJiiiiEEEEESN_NS_8RightPadIiiLb0EEESP_NS_7UnMergeISJ_Lb0EEESG_EEENS5_IJNS_8SequenceIJLi0EEEENST_IJLi1EEEENST_IJLi2EEEENST_IJLi3EEEENST_IJLi4EEEENST_IJLi5EEEENST_IJLi6EEEENST_IJLi7EEEENST_IJLi8EEEENST_IJLi9EEEENST_IJLi10EEEENST_IJLi11ELi13ELi15ELi17EEEENST_IJLi12ELi14ELi16ELi18EEEENST_IJLi19EEEENST_IJLi20EEEENST_IJLi22EEEENST_IJLi21EEEEEEENS5_IJNST_IJLi1ELi2ELi3ELi4ELi5EEEES10_S11_S12_S13_S14_NST_IJLi11EEEENST_IJLi12ELi13EEEENST_IJLi14ELi15EEEENST_IJLi16ELi17EEEENST_IJLi18EEEES17_S18_S1A_S19_NST_IJLi23ELi24EEEENST_IJLi25EEEEEEENST_IJLi23ELi25ELi24EEEElEENSB_INS5_IJSR_SP_SP_SR_SG_EEENS5_IJSU_SV_SW_SY_SX_EEENS5_IJNST_IJLi1ELi2EEEESX_SY_NST_IJLi5ELi6EEEES11_EEENST_IJLi5ELi7ELi6EEEElEENSB_INS5_IJSK_SP_SP_EEENS5_IJSU_SV_SW_EEENS5_IJS1P_SX_SY_EEENST_IJLi3ELi4EEEElEELi128ELi128ELi16ELi4ELi4ELi4ELi1ENST_IJLi8ELi2EEEES1Z_NST_IJLi8ELi1ELi1ELi4EEEENST_IJLi2ELi1ELi128ELi1EEEENST_IJLi1ELi2ELi0ELi3EEEES22_NST_IJLi4ELi1ELi1ELi4EEEES22_NST_IJLi1ELi1ELi1ELi4EEEES20_S21_S22_S22_S23_S22_S24_NST_IJLi0ELi1ELi2ELi3ELi4ELi5EEEELi5ELi4EEEaNS5_IJPKaEEEaS8_S8_S9_NSB_INS5_IJSE_SG_SI_SI_SI_SG_SG_SK_SK_SK_SG_SN_SN_SP_SP_SR_SG_SG_NSQ_INS5_IJiNS_17integral_constantIiLi128EEEEEELb0EEENSF_INS2A_IiLi4EEEEEEEENS5_IJSU_SV_SW_SX_SY_SZ_S10_S11_S12_S13_S14_S15_S16_S17_S18_S19_S1A_NST_IJLi23EEEES1J_NST_IJLi24EEEEEEENS5_IJS1C_S10_S11_S12_S13_S14_S1D_S1E_S1F_S1G_S1H_S17_S18_S1A_S19_S1I_S1J_NST_IJLi26EEEENST_IJLi27ELi28EEEENST_IJLi29EEEEEEENST_IJLi26ELi27ELi28ELi29EEEElEENSB_INS5_IJSR_SP_SP_SR_SG_SG_S2D_S2F_EEENS5_IJSU_SV_SW_SY_SX_SZ_S11_S10_EEENS5_IJS1P_SX_SY_S1Q_S11_S12_NST_IJLi9ELi10EEEES1D_EEENST_IJLi8ELi9ELi10ELi11EEEElEENS5_IJNSB_INS5_IJSK_SP_SP_NSQ_INS5_IJiNS2A_IiLi2EEENS2A_IiLi64EEEEEELb0EEES2Z_EEENS5_IJSU_SV_SW_SX_SY_EEENS5_IJS1P_SX_SY_NST_IJLi5ELi6ELi7EEEENST_IJLi8ELi9ELi10EEEEEEENST_IJLi5ELi6ELi7ELi8ELi9ELi10EEEElEEEEES36_NS_31BlockToCTileMap_M00_N00_M01_N01ILi128ELi128ES1Y_Lb0EEENS1_30ComputePtrOffsetOfStridedBatchILi1ELi1ELi1EvEELb0ELb0EEEvPKT0_S3E_T1_PT2_T3_T4_T5_iT6_T7_T8_T9_T10_T11_.kd
    .uniform_work_group_size: 1
    .uses_dynamic_stack: false
    .vgpr_count:     60
    .vgpr_spill_count: 0
    .wavefront_size: 64
amdhsa.target:   amdgcn-amd-amdhsa--gfx90a
amdhsa.version:
  - 1
  - 2
...

	.end_amdgpu_metadata
